;; amdgpu-corpus repo=ROCm/rocFFT kind=compiled arch=gfx1030 opt=O3
	.text
	.amdgcn_target "amdgcn-amd-amdhsa--gfx1030"
	.amdhsa_code_object_version 6
	.protected	bluestein_single_fwd_len1188_dim1_dp_op_CI_CI ; -- Begin function bluestein_single_fwd_len1188_dim1_dp_op_CI_CI
	.globl	bluestein_single_fwd_len1188_dim1_dp_op_CI_CI
	.p2align	8
	.type	bluestein_single_fwd_len1188_dim1_dp_op_CI_CI,@function
bluestein_single_fwd_len1188_dim1_dp_op_CI_CI: ; @bluestein_single_fwd_len1188_dim1_dp_op_CI_CI
; %bb.0:
	s_load_dwordx4 s[16:19], s[4:5], 0x28
	v_mul_u32_u24_e32 v1, 0x3e1, v0
	s_mov_b64 s[42:43], s[2:3]
	s_mov_b64 s[40:41], s[0:1]
	s_add_u32 s40, s40, s7
	v_lshrrev_b32_e32 v1, 16, v1
	s_addc_u32 s41, s41, 0
	v_mad_u64_u32 v[96:97], null, s6, 3, v[1:2]
	v_mov_b32_e32 v97, 0
                                        ; kill: def $vgpr2 killed $sgpr0 killed $exec
	s_mov_b32 s0, exec_lo
	s_waitcnt lgkmcnt(0)
	v_cmpx_gt_u64_e64 s[16:17], v[96:97]
	s_cbranch_execz .LBB0_10
; %bb.1:
	s_clause 0x1
	s_load_dwordx4 s[0:3], s[4:5], 0x18
	s_load_dwordx4 s[8:11], s[4:5], 0x0
	v_mul_lo_u16 v1, 0x42, v1
	v_mul_hi_u32 v72, 0xaaaaaaab, v96
	v_sub_nc_u16 v88, v0, v1
	v_lshrrev_b32_e32 v72, 1, v72
	v_and_b32_e32 v104, 0xffff, v88
	v_lshl_add_u32 v72, v72, 1, v72
	v_lshlrev_b32_e32 v99, 4, v104
	v_add_co_u32 v105, null, 0x42, v104
	s_waitcnt lgkmcnt(0)
	s_load_dwordx4 s[12:15], s[0:1], 0x0
	s_clause 0x1
	global_load_dwordx4 v[110:113], v99, s[8:9]
	global_load_dwordx4 v[106:109], v99, s[8:9] offset:1056
	v_add_co_u32 v10, s0, s8, v99
	v_add_co_ci_u32_e64 v11, null, s9, 0, s0
	v_sub_nc_u32_e32 v72, v96, v72
	v_add_co_u32 v24, vcc_lo, 0x800, v10
	v_add_co_ci_u32_e32 v25, vcc_lo, 0, v11, vcc_lo
	v_mul_u32_u24_e32 v95, 0x4a4, v72
	v_lshlrev_b32_e32 v178, 4, v95
	s_waitcnt lgkmcnt(0)
	v_mad_u64_u32 v[0:1], null, s14, v96, 0
	v_mad_u64_u32 v[2:3], null, s12, v104, 0
	s_mul_i32 s1, s13, 0xc60
	s_mul_hi_u32 s6, s12, 0xc60
	s_mul_i32 s0, s12, 0xc60
	s_add_i32 s1, s6, s1
	s_mul_i32 s6, s13, 0xffffc640
	v_mad_u64_u32 v[4:5], null, s15, v96, v[1:2]
	s_sub_i32 s6, s6, s12
	s_mov_b32 s15, 0xbfebb67a
	v_mad_u64_u32 v[5:6], null, s13, v104, v[3:4]
	v_mov_b32_e32 v1, v4
	v_add_co_u32 v6, vcc_lo, 0x1800, v10
	v_add_co_ci_u32_e32 v7, vcc_lo, 0, v11, vcc_lo
	v_add_co_u32 v26, vcc_lo, 0x2000, v10
	v_mov_b32_e32 v3, v5
	v_lshlrev_b64 v[0:1], 4, v[0:1]
	v_add_co_ci_u32_e32 v27, vcc_lo, 0, v11, vcc_lo
	v_add_co_u32 v4, vcc_lo, 0x3000, v10
	v_add_co_ci_u32_e32 v5, vcc_lo, 0, v11, vcc_lo
	v_lshlrev_b64 v[2:3], 4, v[2:3]
	v_add_co_u32 v0, vcc_lo, s18, v0
	v_add_co_ci_u32_e32 v1, vcc_lo, s19, v1, vcc_lo
	v_add_co_u32 v0, vcc_lo, v0, v2
	v_add_co_ci_u32_e32 v1, vcc_lo, v1, v3, vcc_lo
	;; [unrolled: 2-line block ×11, first 2 shown]
	s_clause 0x6
	global_load_dwordx4 v[174:177], v[24:25], off offset:1120
	global_load_dwordx4 v[118:121], v[26:27], off offset:1312
	;; [unrolled: 1-line block ×7, first 2 shown]
	v_mad_u64_u32 v[32:33], null, 0xffffc640, s12, v[18:19]
	global_load_dwordx4 v[122:125], v[68:69], off offset:512
	s_clause 0x4
	global_load_dwordx4 v[4:7], v[0:1], off
	global_load_dwordx4 v[0:3], v[2:3], off
	;; [unrolled: 1-line block ×6, first 2 shown]
	v_add_nc_u32_e32 v33, s6, v33
	v_add_co_u32 v34, vcc_lo, v32, s0
	s_clause 0x2
	global_load_dwordx4 v[130:133], v[24:25], off offset:64
	global_load_dwordx4 v[154:157], v[28:29], off offset:128
	;; [unrolled: 1-line block ×3, first 2 shown]
	v_add_co_ci_u32_e32 v35, vcc_lo, s1, v33, vcc_lo
	v_add_co_u32 v36, vcc_lo, v34, s0
	v_add_co_ci_u32_e32 v37, vcc_lo, s1, v35, vcc_lo
	v_add_co_u32 v40, vcc_lo, v36, s0
	v_add_co_ci_u32_e32 v41, vcc_lo, s1, v37, vcc_lo
	global_load_dwordx4 v[142:145], v[26:27], off offset:256
	global_load_dwordx4 v[24:27], v[32:33], off
	s_clause 0x1
	global_load_dwordx4 v[162:165], v[30:31], off offset:320
	global_load_dwordx4 v[150:153], v[30:31], off offset:1376
	global_load_dwordx4 v[44:47], v[34:35], off
	global_load_dwordx4 v[36:39], v[36:37], off
	;; [unrolled: 1-line block ×3, first 2 shown]
	v_add_co_u32 v42, vcc_lo, v40, s0
	v_add_co_ci_u32_e32 v43, vcc_lo, s1, v41, vcc_lo
	v_add_co_u32 v48, vcc_lo, v42, s0
	v_add_co_ci_u32_e32 v49, vcc_lo, s1, v43, vcc_lo
	global_load_dwordx4 v[32:35], v[42:43], off
	v_mad_u64_u32 v[50:51], null, 0xffffc640, s12, v[48:49]
	global_load_dwordx4 v[40:43], v[48:49], off
	s_load_dwordx2 s[12:13], s[4:5], 0x38
	v_add_nc_u32_e32 v51, s6, v51
	v_add_co_u32 v52, vcc_lo, v50, s0
	v_add_co_ci_u32_e32 v53, vcc_lo, s1, v51, vcc_lo
	v_add_co_u32 v56, vcc_lo, v52, s0
	global_load_dwordx4 v[48:51], v[50:51], off
	v_add_co_ci_u32_e32 v57, vcc_lo, s1, v53, vcc_lo
	v_add_co_u32 v60, vcc_lo, v56, s0
	global_load_dwordx4 v[52:55], v[52:53], off
	;; [unrolled: 3-line block ×3, first 2 shown]
	v_add_co_ci_u32_e32 v67, vcc_lo, s1, v61, vcc_lo
	v_add_co_u32 v70, vcc_lo, v66, s0
	v_add_co_ci_u32_e32 v71, vcc_lo, s1, v67, vcc_lo
	global_load_dwordx4 v[60:63], v[60:61], off
	global_load_dwordx4 v[166:169], v[64:65], off offset:448
	global_load_dwordx4 v[64:67], v[66:67], off
	global_load_dwordx4 v[170:173], v[68:69], off offset:1568
	global_load_dwordx4 v[68:71], v[70:71], off
	buffer_store_dword v95, off, s[40:43], 0 offset:424 ; 4-byte Folded Spill
	buffer_store_dword v99, off, s[40:43], 0 offset:420 ; 4-byte Folded Spill
	v_add_nc_u32_e32 v99, v99, v178
	v_mul_lo_u16 v95, v88, 6
	s_mov_b32 s0, 0xe8584caa
	s_mov_b32 s1, 0x3febb67a
	;; [unrolled: 1-line block ×3, first 2 shown]
	v_cmp_gt_u16_e32 vcc_lo, 42, v88
	s_waitcnt vmcnt(25)
	v_mul_f64 v[72:73], v[6:7], v[112:113]
	s_waitcnt vmcnt(24)
	v_mul_f64 v[76:77], v[2:3], v[176:177]
	;; [unrolled: 2-line block ×6, first 2 shown]
	v_mul_f64 v[74:75], v[4:5], v[112:113]
	v_mul_f64 v[78:79], v[0:1], v[176:177]
	;; [unrolled: 1-line block ×6, first 2 shown]
	s_waitcnt vmcnt(15)
	v_mul_f64 v[100:101], v[26:27], v[108:109]
	v_mul_f64 v[102:103], v[24:25], v[108:109]
	v_fma_f64 v[4:5], v[4:5], v[110:111], v[72:73]
	buffer_store_dword v110, off, s[40:43], 0 offset:84 ; 4-byte Folded Spill
	buffer_store_dword v111, off, s[40:43], 0 offset:88 ; 4-byte Folded Spill
	buffer_store_dword v112, off, s[40:43], 0 offset:92 ; 4-byte Folded Spill
	buffer_store_dword v113, off, s[40:43], 0 offset:96 ; 4-byte Folded Spill
	v_fma_f64 v[0:1], v[0:1], v[174:175], v[76:77]
	buffer_store_dword v174, off, s[40:43], 0 offset:340 ; 4-byte Folded Spill
	buffer_store_dword v175, off, s[40:43], 0 offset:344 ; 4-byte Folded Spill
	buffer_store_dword v176, off, s[40:43], 0 offset:348 ; 4-byte Folded Spill
	buffer_store_dword v177, off, s[40:43], 0 offset:352 ; 4-byte Folded Spill
	;; [unrolled: 5-line block ×6, first 2 shown]
	s_waitcnt vmcnt(12)
	v_mul_f64 v[72:73], v[46:47], v[156:157]
	s_waitcnt vmcnt(11)
	v_mul_f64 v[76:77], v[38:39], v[140:141]
	;; [unrolled: 2-line block ×5, first 2 shown]
	v_fma_f64 v[24:25], v[24:25], v[106:107], v[100:101]
	buffer_store_dword v106, off, s[40:43], 0 offset:68 ; 4-byte Folded Spill
	buffer_store_dword v107, off, s[40:43], 0 offset:72 ; 4-byte Folded Spill
	;; [unrolled: 1-line block ×4, first 2 shown]
	s_waitcnt vmcnt(7)
	v_mul_f64 v[93:94], v[50:51], v[132:133]
	s_waitcnt vmcnt(6)
	v_mul_f64 v[100:101], v[54:55], v[136:137]
	;; [unrolled: 2-line block ×6, first 2 shown]
	v_fma_f64 v[6:7], v[6:7], v[110:111], -v[74:75]
	v_mul_f64 v[110:111], v[62:63], v[152:153]
	v_mul_f64 v[74:75], v[44:45], v[156:157]
	v_fma_f64 v[44:45], v[44:45], v[154:155], v[72:73]
	buffer_store_dword v154, off, s[40:43], 0 offset:260 ; 4-byte Folded Spill
	buffer_store_dword v155, off, s[40:43], 0 offset:264 ; 4-byte Folded Spill
	;; [unrolled: 1-line block ×4, first 2 shown]
	v_fma_f64 v[2:3], v[2:3], v[174:175], -v[78:79]
	v_fma_f64 v[14:15], v[14:15], v[118:119], -v[86:87]
	v_mul_f64 v[118:119], v[70:71], v[172:173]
	v_mul_f64 v[78:79], v[36:37], v[140:141]
	v_fma_f64 v[36:37], v[36:37], v[138:139], v[76:77]
	v_fma_f64 v[18:19], v[18:19], v[114:115], -v[97:98]
	v_mul_f64 v[114:115], v[66:67], v[168:169]
	buffer_store_dword v138, off, s[40:43], 0 offset:164 ; 4-byte Folded Spill
	buffer_store_dword v139, off, s[40:43], 0 offset:168 ; 4-byte Folded Spill
	;; [unrolled: 1-line block ×4, first 2 shown]
	v_fma_f64 v[10:11], v[10:11], v[158:159], -v[82:83]
	v_mul_f64 v[82:83], v[28:29], v[164:165]
	v_fma_f64 v[28:29], v[28:29], v[162:163], v[80:81]
	buffer_store_dword v162, off, s[40:43], 0 offset:292 ; 4-byte Folded Spill
	buffer_store_dword v163, off, s[40:43], 0 offset:296 ; 4-byte Folded Spill
	;; [unrolled: 1-line block ×4, first 2 shown]
	v_mul_f64 v[86:87], v[32:33], v[128:129]
	v_fma_f64 v[26:27], v[26:27], v[106:107], -v[102:103]
	v_mul_f64 v[106:107], v[58:59], v[144:145]
	v_fma_f64 v[32:33], v[32:33], v[126:127], v[84:85]
	buffer_store_dword v126, off, s[40:43], 0 offset:116 ; 4-byte Folded Spill
	buffer_store_dword v127, off, s[40:43], 0 offset:120 ; 4-byte Folded Spill
	;; [unrolled: 1-line block ×4, first 2 shown]
	v_fma_f64 v[22:23], v[22:23], v[146:147], -v[91:92]
	v_mul_f64 v[91:92], v[40:41], v[124:125]
	v_fma_f64 v[40:41], v[40:41], v[122:123], v[89:90]
	buffer_store_dword v122, off, s[40:43], 0 offset:100 ; 4-byte Folded Spill
	buffer_store_dword v123, off, s[40:43], 0 offset:104 ; 4-byte Folded Spill
	buffer_store_dword v124, off, s[40:43], 0 offset:108 ; 4-byte Folded Spill
	buffer_store_dword v125, off, s[40:43], 0 offset:112 ; 4-byte Folded Spill
	v_mul_f64 v[97:98], v[48:49], v[132:133]
	v_fma_f64 v[48:49], v[48:49], v[130:131], v[93:94]
	buffer_store_dword v130, off, s[40:43], 0 offset:132 ; 4-byte Folded Spill
	buffer_store_dword v131, off, s[40:43], 0 offset:136 ; 4-byte Folded Spill
	buffer_store_dword v132, off, s[40:43], 0 offset:140 ; 4-byte Folded Spill
	buffer_store_dword v133, off, s[40:43], 0 offset:144 ; 4-byte Folded Spill
	;; [unrolled: 6-line block ×3, first 2 shown]
	v_fma_f64 v[60:61], v[60:61], v[150:151], v[110:111]
	v_fma_f64 v[64:65], v[64:65], v[166:167], v[114:115]
	;; [unrolled: 1-line block ×3, first 2 shown]
	v_and_b32_e32 v72, 0xffff, v95
	v_mul_u32_u24_e32 v73, 6, v105
	v_lshl_add_u32 v101, v72, 4, v178
	v_fma_f64 v[56:57], v[56:57], v[142:143], v[106:107]
	buffer_store_dword v142, off, s[40:43], 0 offset:180 ; 4-byte Folded Spill
	buffer_store_dword v143, off, s[40:43], 0 offset:184 ; 4-byte Folded Spill
	;; [unrolled: 1-line block ×16, first 2 shown]
	buffer_store_dword v104, off, s[40:43], 0 ; 4-byte Folded Spill
	s_load_dwordx4 s[4:7], s[2:3], 0x0
	v_lshl_add_u32 v100, v73, 4, v178
	v_add_co_u32 v104, null, 0x84, v104
	v_mul_u32_u24_e32 v95, 6, v104
	v_fma_f64 v[46:47], v[46:47], v[154:155], -v[74:75]
	v_fma_f64 v[38:39], v[38:39], v[138:139], -v[78:79]
	;; [unrolled: 1-line block ×11, first 2 shown]
	ds_write_b128 v99, v[4:7]
	ds_write_b128 v99, v[0:3] offset:3168
	ds_write_b128 v99, v[8:11] offset:6336
	;; [unrolled: 1-line block ×17, first 2 shown]
	s_waitcnt lgkmcnt(0)
	s_waitcnt_vscnt null, 0x0
	s_barrier
	buffer_gl0_inv
	ds_read_b128 v[0:3], v99 offset:6336
	ds_read_b128 v[4:7], v99
	ds_read_b128 v[8:11], v99 offset:12672
	ds_read_b128 v[12:15], v99 offset:3168
	;; [unrolled: 1-line block ×16, first 2 shown]
	buffer_store_dword v178, off, s[40:43], 0 offset:436 ; 4-byte Folded Spill
	s_waitcnt lgkmcnt(0)
	s_waitcnt_vscnt null, 0x0
	s_barrier
	buffer_gl0_inv
	v_add_f64 v[86:87], v[14:15], v[18:19]
	v_add_f64 v[82:83], v[16:17], v[20:21]
	v_add_f64 v[84:85], v[18:19], -v[22:23]
	v_add_f64 v[18:19], v[18:19], v[22:23]
	v_add_f64 v[80:81], v[12:13], v[16:17]
	;; [unrolled: 1-line block ×3, first 2 shown]
	v_add_f64 v[16:17], v[16:17], -v[20:21]
	v_add_f64 v[93:94], v[30:31], -v[34:35]
	v_add_f64 v[97:98], v[26:27], v[30:31]
	v_add_f64 v[30:31], v[30:31], v[34:35]
	;; [unrolled: 1-line block ×7, first 2 shown]
	v_add_f64 v[76:77], v[2:3], -v[10:11]
	v_add_f64 v[78:79], v[6:7], v[2:3]
	v_add_f64 v[2:3], v[2:3], v[10:11]
	;; [unrolled: 1-line block ×4, first 2 shown]
	v_add_f64 v[0:1], v[0:1], -v[8:9]
	v_add_f64 v[110:111], v[54:55], -v[66:67]
	v_add_f64 v[54:55], v[42:43], v[54:55]
	v_add_f64 v[52:53], v[52:53], -v[64:65]
	v_fma_f64 v[12:13], v[82:83], -0.5, v[12:13]
	v_fma_f64 v[14:15], v[18:19], -0.5, v[14:15]
	v_add_f64 v[91:92], v[28:29], v[32:33]
	v_add_f64 v[28:29], v[28:29], -v[32:33]
	v_add_f64 v[18:19], v[44:45], v[56:57]
	v_add_f64 v[82:83], v[58:59], -v[70:71]
	;; [unrolled: 2-line block ×3, first 2 shown]
	v_fma_f64 v[26:27], v[30:31], -0.5, v[26:27]
	v_add_f64 v[72:73], v[72:73], v[8:9]
	v_fma_f64 v[8:9], v[102:103], -0.5, v[42:43]
	v_fma_f64 v[40:41], v[106:107], -0.5, v[40:41]
	;; [unrolled: 1-line block ×3, first 2 shown]
	v_add_f64 v[30:31], v[108:109], v[64:65]
	v_add_f64 v[42:43], v[78:79], v[10:11]
	v_fma_f64 v[2:3], v[2:3], -0.5, v[6:7]
	v_add_f64 v[6:7], v[80:81], v[20:21]
	v_add_f64 v[20:21], v[86:87], v[22:23]
	;; [unrolled: 1-line block ×3, first 2 shown]
	v_fma_f64 v[10:11], v[116:117], -0.5, v[46:47]
	v_fma_f64 v[32:33], v[118:119], -0.5, v[44:45]
	v_add_f64 v[46:47], v[54:55], v[66:67]
	v_fma_f64 v[64:65], v[84:85], s[14:15], v[12:13]
	v_fma_f64 v[54:55], v[16:17], s[14:15], v[14:15]
	;; [unrolled: 1-line block ×4, first 2 shown]
	v_add_f64 v[114:115], v[48:49], v[60:61]
	v_add_f64 v[120:121], v[50:51], -v[62:63]
	v_add_f64 v[122:123], v[38:39], v[50:51]
	v_add_f64 v[50:51], v[50:51], v[62:63]
	v_fma_f64 v[24:25], v[91:92], -0.5, v[24:25]
	v_add_f64 v[58:59], v[58:59], v[70:71]
	v_fma_f64 v[66:67], v[52:53], s[14:15], v[8:9]
	v_fma_f64 v[74:75], v[110:111], s[14:15], v[40:41]
	;; [unrolled: 1-line block ×6, first 2 shown]
	v_add_f64 v[44:45], v[97:98], v[34:35]
	v_add_f64 v[68:69], v[18:19], v[68:69]
	v_fma_f64 v[84:85], v[0:1], s[14:15], v[2:3]
	v_fma_f64 v[76:77], v[56:57], s[14:15], v[10:11]
	;; [unrolled: 1-line block ×6, first 2 shown]
	v_mul_f64 v[2:3], v[54:55], s[0:1]
	v_mul_f64 v[18:19], v[64:65], -0.5
	v_mul_f64 v[40:41], v[12:13], s[14:15]
	v_mul_f64 v[86:87], v[14:15], -0.5
	v_add_f64 v[10:11], v[42:43], v[20:21]
	v_add_f64 v[34:35], v[42:43], -v[20:21]
	v_add_f64 v[112:113], v[36:37], v[48:49]
	v_add_f64 v[48:49], v[48:49], -v[60:61]
	v_fma_f64 v[16:17], v[114:115], -0.5, v[36:37]
	v_mul_f64 v[20:21], v[74:75], -0.5
	v_mul_f64 v[89:90], v[52:53], -0.5
	v_fma_f64 v[50:51], v[50:51], -0.5, v[38:39]
	v_add_f64 v[8:9], v[72:73], v[6:7]
	v_add_f64 v[32:33], v[72:73], -v[6:7]
	v_mul_f64 v[6:7], v[66:67], s[0:1]
	v_mul_f64 v[72:73], v[78:79], s[14:15]
	v_fma_f64 v[91:92], v[93:94], s[0:1], v[24:25]
	v_fma_f64 v[24:25], v[93:94], s[14:15], v[24:25]
	;; [unrolled: 1-line block ×4, first 2 shown]
	v_mul_f64 v[28:29], v[76:77], s[0:1]
	v_mul_f64 v[102:103], v[82:83], s[14:15]
	v_mul_f64 v[97:98], v[80:81], -0.5
	v_mul_f64 v[106:107], v[56:57], -0.5
	v_add_f64 v[62:63], v[122:123], v[62:63]
	v_add_f64 v[36:37], v[22:23], v[30:31]
	v_fma_f64 v[2:3], v[12:13], 0.5, v[2:3]
	v_fma_f64 v[12:13], v[14:15], s[0:1], v[18:19]
	v_fma_f64 v[14:15], v[54:55], 0.5, v[40:41]
	v_fma_f64 v[64:65], v[64:65], s[14:15], v[86:87]
	v_add_f64 v[40:41], v[22:23], -v[30:31]
	v_fma_f64 v[30:31], v[52:53], s[0:1], v[20:21]
	v_fma_f64 v[74:75], v[74:75], s[14:15], v[89:90]
	v_add_f64 v[60:61], v[112:113], v[60:61]
	v_fma_f64 v[86:87], v[120:121], s[0:1], v[16:17]
	v_fma_f64 v[108:109], v[120:121], s[14:15], v[16:17]
	v_fma_f64 v[6:7], v[78:79], 0.5, v[6:7]
	v_fma_f64 v[72:73], v[66:67], 0.5, v[72:73]
	v_fma_f64 v[78:79], v[48:49], s[14:15], v[50:51]
	v_fma_f64 v[89:90], v[48:49], s[0:1], v[50:51]
	v_add_f64 v[38:39], v[44:45], v[46:47]
	v_add_f64 v[42:43], v[44:45], -v[46:47]
	v_fma_f64 v[82:83], v[82:83], 0.5, v[28:29]
	v_fma_f64 v[76:77], v[76:77], 0.5, v[102:103]
	v_fma_f64 v[97:98], v[56:57], s[0:1], v[97:98]
	v_fma_f64 v[80:81], v[80:81], s[14:15], v[106:107]
	v_add_f64 v[18:19], v[62:63], v[58:59]
	v_add_f64 v[22:23], v[62:63], -v[58:59]
	v_add_f64 v[44:45], v[70:71], v[2:3]
	v_add_f64 v[52:53], v[70:71], -v[2:3]
	v_add_f64 v[56:57], v[4:5], -v[12:13]
	v_add_f64 v[50:51], v[0:1], v[64:65]
	v_add_f64 v[58:59], v[0:1], -v[64:65]
	v_add_f64 v[0:1], v[24:25], -v[30:31]
	;; [unrolled: 1-line block ×3, first 2 shown]
	v_add_f64 v[16:17], v[60:61], v[68:69]
	v_add_f64 v[20:21], v[60:61], -v[68:69]
	v_add_f64 v[46:47], v[84:85], v[14:15]
	v_add_f64 v[60:61], v[91:92], v[6:7]
	;; [unrolled: 1-line block ×6, first 2 shown]
	v_add_f64 v[54:55], v[84:85], -v[14:15]
	v_add_f64 v[24:25], v[86:87], v[82:83]
	v_add_f64 v[26:27], v[78:79], v[76:77]
	;; [unrolled: 1-line block ×4, first 2 shown]
	v_add_f64 v[68:69], v[91:92], -v[6:7]
	v_add_f64 v[70:71], v[93:94], -v[72:73]
	;; [unrolled: 1-line block ×6, first 2 shown]
	v_lshl_add_u32 v102, v95, 4, v178
	ds_write_b128 v101, v[8:11]
	ds_write_b128 v101, v[32:35] offset:48
	ds_write_b128 v101, v[44:47] offset:16
	;; [unrolled: 1-line block ×4, first 2 shown]
	buffer_store_dword v101, off, s[40:43], 0 offset:432 ; 4-byte Folded Spill
	ds_write_b128 v101, v[56:59] offset:80
	ds_write_b128 v100, v[36:39]
	ds_write_b128 v100, v[60:63] offset:16
	ds_write_b128 v100, v[64:67] offset:32
	;; [unrolled: 1-line block ×4, first 2 shown]
	buffer_store_dword v100, off, s[40:43], 0 offset:428 ; 4-byte Folded Spill
	ds_write_b128 v100, v[0:3] offset:80
	ds_write_b128 v102, v[16:19]
	ds_write_b128 v102, v[24:27] offset:16
	ds_write_b128 v102, v[28:31] offset:32
	;; [unrolled: 1-line block ×5, first 2 shown]
	s_waitcnt lgkmcnt(0)
	s_waitcnt_vscnt null, 0x0
	s_barrier
	buffer_gl0_inv
	ds_read_b128 v[8:11], v99
	ds_read_b128 v[84:87], v99 offset:1728
	ds_read_b128 v[80:83], v99 offset:3456
	ds_read_b128 v[76:79], v99 offset:5184
	ds_read_b128 v[72:75], v99 offset:6912
	ds_read_b128 v[68:71], v99 offset:8640
	ds_read_b128 v[64:67], v99 offset:10368
	ds_read_b128 v[60:63], v99 offset:12096
	ds_read_b128 v[56:59], v99 offset:13824
	ds_read_b128 v[52:55], v99 offset:15552
	ds_read_b128 v[48:51], v99 offset:17280
                                        ; implicit-def: $vgpr40_vgpr41
                                        ; implicit-def: $vgpr44_vgpr45
                                        ; implicit-def: $vgpr32_vgpr33
                                        ; implicit-def: $vgpr36_vgpr37
	s_and_saveexec_b32 s0, vcc_lo
	s_cbranch_execz .LBB0_3
; %bb.2:
	ds_read_b128 v[0:3], v99 offset:1056
	ds_read_b128 v[16:19], v99 offset:2784
	;; [unrolled: 1-line block ×11, first 2 shown]
.LBB0_3:
	s_or_b32 exec_lo, exec_lo, s0
	buffer_load_dword v89, off, s[40:43], 0 ; 4-byte Folded Reload
	v_mov_b32_e32 v111, 10
	s_mov_b32 s18, 0xf8bb580b
	s_mov_b32 s22, 0x8eee2c13
	;; [unrolled: 1-line block ×28, first 2 shown]
	s_waitcnt vmcnt(0)
	v_and_b32_e32 v88, 0xff, v89
	v_mul_lo_u16 v88, 0xab, v88
	v_lshrrev_b16 v103, 10, v88
	v_mul_lo_u16 v88, v103, 6
	v_sub_nc_u16 v106, v89, v88
	v_mul_u32_u24_sdwa v88, v106, v111 dst_sel:DWORD dst_unused:UNUSED_PAD src0_sel:BYTE_0 src1_sel:DWORD
	v_lshlrev_b32_e32 v152, 4, v88
	s_clause 0x9
	global_load_dwordx4 v[124:127], v152, s[10:11] offset:48
	global_load_dwordx4 v[132:135], v152, s[10:11] offset:32
	global_load_dwordx4 v[136:139], v152, s[10:11] offset:16
	global_load_dwordx4 v[144:147], v152, s[10:11]
	global_load_dwordx4 v[116:119], v152, s[10:11] offset:112
	global_load_dwordx4 v[120:123], v152, s[10:11] offset:96
	;; [unrolled: 1-line block ×6, first 2 shown]
	s_waitcnt vmcnt(6) lgkmcnt(9)
	v_mul_f64 v[88:89], v[86:87], v[146:147]
	v_fma_f64 v[107:108], v[84:85], v[144:145], -v[88:89]
	v_mul_f64 v[84:85], v[84:85], v[146:147]
	v_fma_f64 v[109:110], v[86:87], v[144:145], v[84:85]
	s_waitcnt lgkmcnt(8)
	v_mul_f64 v[84:85], v[82:83], v[138:139]
	v_fma_f64 v[170:171], v[80:81], v[136:137], -v[84:85]
	v_mul_f64 v[80:81], v[80:81], v[138:139]
	v_fma_f64 v[164:165], v[82:83], v[136:137], v[80:81]
	s_waitcnt lgkmcnt(7)
	;; [unrolled: 5-line block ×3, first 2 shown]
	v_mul_f64 v[76:77], v[74:75], v[126:127]
	v_fma_f64 v[114:115], v[72:73], v[124:125], -v[76:77]
	v_mul_f64 v[72:73], v[72:73], v[126:127]
	v_fma_f64 v[97:98], v[74:75], v[124:125], v[72:73]
	s_waitcnt vmcnt(2) lgkmcnt(5)
	v_mul_f64 v[72:73], v[70:71], v[150:151]
	v_fma_f64 v[92:93], v[68:69], v[148:149], -v[72:73]
	v_mul_f64 v[68:69], v[68:69], v[150:151]
	v_fma_f64 v[88:89], v[70:71], v[148:149], v[68:69]
	s_waitcnt lgkmcnt(4)
	v_mul_f64 v[68:69], v[66:67], v[130:131]
	v_fma_f64 v[94:95], v[64:65], v[128:129], -v[68:69]
	v_mul_f64 v[64:65], v[64:65], v[130:131]
	v_fma_f64 v[90:91], v[66:67], v[128:129], v[64:65]
	s_waitcnt lgkmcnt(3)
	;; [unrolled: 5-line block ×3, first 2 shown]
	v_mul_f64 v[60:61], v[58:59], v[118:119]
	v_fma_f64 v[166:167], v[56:57], v[116:117], -v[60:61]
	v_mul_f64 v[56:57], v[56:57], v[118:119]
	v_fma_f64 v[160:161], v[58:59], v[116:117], v[56:57]
	s_waitcnt vmcnt(0) lgkmcnt(1)
	v_mul_f64 v[56:57], v[54:55], v[154:155]
	v_fma_f64 v[56:57], v[52:53], v[152:153], -v[56:57]
	v_mul_f64 v[52:53], v[52:53], v[154:155]
	v_fma_f64 v[168:169], v[54:55], v[152:153], v[52:53]
	s_waitcnt lgkmcnt(0)
	v_mul_f64 v[52:53], v[50:51], v[142:143]
	v_fma_f64 v[52:53], v[48:49], v[140:141], -v[52:53]
	v_mul_f64 v[48:49], v[48:49], v[142:143]
	v_fma_f64 v[48:49], v[50:51], v[140:141], v[48:49]
	v_and_b32_e32 v50, 0xff, v105
	v_mul_lo_u16 v50, 0xab, v50
	v_lshrrev_b16 v50, 10, v50
	buffer_store_dword v50, off, s[40:43], 0 offset:360 ; 4-byte Folded Spill
	v_mul_lo_u16 v50, v50, 6
	v_sub_nc_u16 v50, v105, v50
	buffer_store_dword v50, off, s[40:43], 0 offset:356 ; 4-byte Folded Spill
	v_mul_u32_u24_sdwa v50, v50, v111 dst_sel:DWORD dst_unused:UNUSED_PAD src0_sel:BYTE_0 src1_sel:DWORD
	v_lshlrev_b32_e32 v54, 4, v50
	s_clause 0x3
	global_load_dwordx4 v[58:61], v54, s[10:11] offset:48
	global_load_dwordx4 v[66:69], v54, s[10:11] offset:32
	;; [unrolled: 1-line block ×3, first 2 shown]
	global_load_dwordx4 v[70:73], v54, s[10:11]
	s_waitcnt vmcnt(0)
	v_mul_f64 v[50:51], v[18:19], v[72:73]
	v_fma_f64 v[74:75], v[16:17], v[70:71], -v[50:51]
	v_mul_f64 v[16:17], v[16:17], v[72:73]
	buffer_store_dword v70, off, s[40:43], 0 offset:552 ; 4-byte Folded Spill
	buffer_store_dword v71, off, s[40:43], 0 offset:556 ; 4-byte Folded Spill
	buffer_store_dword v72, off, s[40:43], 0 offset:560 ; 4-byte Folded Spill
	buffer_store_dword v73, off, s[40:43], 0 offset:564 ; 4-byte Folded Spill
	v_fma_f64 v[78:79], v[18:19], v[70:71], v[16:17]
	v_mul_f64 v[16:17], v[26:27], v[64:65]
	v_fma_f64 v[70:71], v[24:25], v[62:63], -v[16:17]
	v_mul_f64 v[16:17], v[24:25], v[64:65]
	buffer_store_dword v62, off, s[40:43], 0 offset:488 ; 4-byte Folded Spill
	buffer_store_dword v63, off, s[40:43], 0 offset:492 ; 4-byte Folded Spill
	buffer_store_dword v64, off, s[40:43], 0 offset:496 ; 4-byte Folded Spill
	buffer_store_dword v65, off, s[40:43], 0 offset:500 ; 4-byte Folded Spill
	v_fma_f64 v[76:77], v[26:27], v[62:63], v[16:17]
	;; [unrolled: 8-line block ×3, first 2 shown]
	v_mul_f64 v[16:17], v[22:23], v[60:61]
	v_mov_b32_e32 v80, v198
	v_fma_f64 v[202:203], v[20:21], v[58:59], -v[16:17]
	v_mul_f64 v[16:17], v[20:21], v[60:61]
	buffer_store_dword v58, off, s[40:43], 0 offset:440 ; 4-byte Folded Spill
	buffer_store_dword v59, off, s[40:43], 0 offset:444 ; 4-byte Folded Spill
	;; [unrolled: 1-line block ×4, first 2 shown]
	v_mov_b32_e32 v81, v199
	v_mov_b32_e32 v207, v203
	;; [unrolled: 1-line block ×3, first 2 shown]
	v_fma_f64 v[214:215], v[22:23], v[58:59], v[16:17]
	s_clause 0x3
	global_load_dwordx4 v[58:61], v54, s[10:11] offset:112
	global_load_dwordx4 v[18:21], v54, s[10:11] offset:96
	;; [unrolled: 1-line block ×4, first 2 shown]
	v_mov_b32_e32 v219, v215
	v_mov_b32_e32 v218, v214
	s_waitcnt vmcnt(0)
	v_mul_f64 v[16:17], v[6:7], v[28:29]
	v_fma_f64 v[82:83], v[4:5], v[26:27], -v[16:17]
	v_mul_f64 v[4:5], v[4:5], v[28:29]
	buffer_store_dword v26, off, s[40:43], 0 offset:520 ; 4-byte Folded Spill
	buffer_store_dword v27, off, s[40:43], 0 offset:524 ; 4-byte Folded Spill
	;; [unrolled: 1-line block ×4, first 2 shown]
	v_mov_b32_e32 v87, v83
	v_mov_b32_e32 v86, v82
	v_fma_f64 v[100:101], v[6:7], v[26:27], v[4:5]
	v_mul_f64 v[4:5], v[14:15], v[24:25]
	v_add_f64 v[6:7], v[10:11], v[109:110]
	v_mov_b32_e32 v84, v100
	v_fma_f64 v[254:255], v[12:13], v[22:23], -v[4:5]
	v_mul_f64 v[4:5], v[12:13], v[24:25]
	buffer_store_dword v22, off, s[40:43], 0 offset:472 ; 4-byte Folded Spill
	buffer_store_dword v23, off, s[40:43], 0 offset:476 ; 4-byte Folded Spill
	buffer_store_dword v24, off, s[40:43], 0 offset:480 ; 4-byte Folded Spill
	buffer_store_dword v25, off, s[40:43], 0 offset:484 ; 4-byte Folded Spill
	v_add_f64 v[6:7], v[6:7], v[164:165]
	v_mov_b32_e32 v85, v101
	v_add_f64 v[228:229], v[82:83], v[254:255]
	v_add_f64 v[6:7], v[6:7], v[156:157]
	v_add_f64 v[6:7], v[6:7], v[97:98]
	v_add_f64 v[6:7], v[6:7], v[88:89]
	v_add_f64 v[6:7], v[6:7], v[90:91]
	v_add_f64 v[6:7], v[6:7], v[112:113]
	v_add_f64 v[6:7], v[6:7], v[160:161]
	v_add_f64 v[6:7], v[6:7], v[168:169]
	v_add_f64 v[6:7], v[6:7], v[48:49]
	v_fma_f64 v[72:73], v[14:15], v[22:23], v[4:5]
	v_mul_f64 v[4:5], v[42:43], v[20:21]
	v_add_f64 v[234:235], v[100:101], v[72:73]
	v_fma_f64 v[200:201], v[40:41], v[18:19], -v[4:5]
	v_mul_f64 v[4:5], v[40:41], v[20:21]
	buffer_store_dword v18, off, s[40:43], 0 offset:456 ; 4-byte Folded Spill
	buffer_store_dword v19, off, s[40:43], 0 offset:460 ; 4-byte Folded Spill
	;; [unrolled: 1-line block ×4, first 2 shown]
	v_add_f64 v[250:251], v[202:203], -v[200:201]
	v_mov_b32_e32 v205, v201
	v_mov_b32_e32 v204, v200
	v_mul_f64 v[242:243], v[250:251], s[26:27]
	v_mul_f64 v[246:247], v[250:251], s[34:35]
	;; [unrolled: 1-line block ×3, first 2 shown]
	v_fma_f64 v[212:213], v[42:43], v[18:19], v[4:5]
	v_mul_f64 v[4:5], v[46:47], v[60:61]
	v_add_f64 v[238:239], v[214:215], -v[212:213]
	v_fma_f64 v[68:69], v[44:45], v[58:59], -v[4:5]
	v_mul_f64 v[4:5], v[44:45], v[60:61]
	buffer_store_dword v58, off, s[40:43], 0 offset:536 ; 4-byte Folded Spill
	buffer_store_dword v59, off, s[40:43], 0 offset:540 ; 4-byte Folded Spill
	;; [unrolled: 1-line block ×4, first 2 shown]
	s_clause 0x1
	global_load_dwordx4 v[12:15], v54, s[10:11] offset:144
	global_load_dwordx4 v[16:19], v54, s[10:11] offset:128
	v_add_f64 v[210:211], v[214:215], v[212:213]
	v_mov_b32_e32 v217, v213
	v_mov_b32_e32 v216, v212
	;; [unrolled: 1-line block ×4, first 2 shown]
	v_mul_f64 v[240:241], v[238:239], s[26:27]
	v_mul_f64 v[244:245], v[238:239], s[34:35]
	;; [unrolled: 1-line block ×3, first 2 shown]
	v_fma_f64 v[196:197], v[46:47], v[58:59], v[4:5]
	s_waitcnt vmcnt(0)
	v_mul_f64 v[4:5], v[34:35], v[18:19]
	v_add_f64 v[180:181], v[198:199], v[196:197]
	v_fma_f64 v[176:177], v[32:33], v[16:17], -v[4:5]
	v_mul_f64 v[4:5], v[32:33], v[18:19]
	buffer_store_dword v16, off, s[40:43], 0 offset:584 ; 4-byte Folded Spill
	buffer_store_dword v17, off, s[40:43], 0 offset:588 ; 4-byte Folded Spill
	;; [unrolled: 1-line block ×4, first 2 shown]
	v_add_f64 v[18:19], v[109:110], -v[48:49]
	v_mul_f64 v[20:21], v[18:19], s[18:19]
	v_mul_f64 v[28:29], v[18:19], s[22:23]
	v_mul_f64 v[44:45], v[18:19], s[26:27]
	v_fma_f64 v[178:179], v[34:35], v[16:17], v[4:5]
	v_mul_f64 v[4:5], v[38:39], v[14:15]
	v_add_f64 v[16:17], v[107:108], -v[52:53]
	v_fma_f64 v[172:173], v[36:37], v[12:13], -v[4:5]
	v_mul_f64 v[4:5], v[36:37], v[14:15]
	buffer_store_dword v12, off, s[40:43], 0 offset:568 ; 4-byte Folded Spill
	buffer_store_dword v13, off, s[40:43], 0 offset:572 ; 4-byte Folded Spill
	;; [unrolled: 1-line block ×4, first 2 shown]
	v_mul_f64 v[36:37], v[18:19], s[16:17]
	v_mul_f64 v[18:19], v[18:19], s[28:29]
	v_add_f64 v[14:15], v[109:110], v[48:49]
	v_mul_f64 v[24:25], v[16:17], s[18:19]
	v_mul_f64 v[32:33], v[16:17], s[22:23]
	v_mul_f64 v[40:41], v[16:17], s[16:17]
	v_mul_f64 v[48:49], v[16:17], s[26:27]
	v_mul_f64 v[16:17], v[16:17], s[28:29]
	v_fma_f64 v[26:27], v[14:15], s[0:1], v[24:25]
	v_fma_f64 v[24:25], v[14:15], s[0:1], -v[24:25]
	v_fma_f64 v[34:35], v[14:15], s[2:3], v[32:33]
	v_fma_f64 v[32:33], v[14:15], s[2:3], -v[32:33]
	;; [unrolled: 2-line block ×4, first 2 shown]
	v_fma_f64 v[54:55], v[14:15], s[24:25], v[16:17]
	v_add_f64 v[26:27], v[10:11], v[26:27]
	v_add_f64 v[24:25], v[10:11], v[24:25]
	;; [unrolled: 1-line block ×9, first 2 shown]
	v_fma_f64 v[174:175], v[38:39], v[12:13], v[4:5]
	v_add_f64 v[4:5], v[8:9], v[107:108]
	v_add_f64 v[12:13], v[107:108], v[52:53]
	;; [unrolled: 1-line block ×3, first 2 shown]
	v_fma_f64 v[22:23], v[12:13], s[0:1], -v[20:21]
	v_fma_f64 v[20:21], v[12:13], s[0:1], v[20:21]
	v_fma_f64 v[30:31], v[12:13], s[2:3], -v[28:29]
	v_fma_f64 v[28:29], v[12:13], s[2:3], v[28:29]
	;; [unrolled: 2-line block ×4, first 2 shown]
	v_add_f64 v[4:5], v[4:5], v[162:163]
	v_add_f64 v[22:23], v[8:9], v[22:23]
	;; [unrolled: 1-line block ×16, first 2 shown]
	v_fma_f64 v[52:53], v[12:13], s[24:25], -v[18:19]
	v_fma_f64 v[12:13], v[12:13], s[24:25], v[18:19]
	v_add_f64 v[18:19], v[164:165], -v[168:169]
	v_add_f64 v[52:53], v[8:9], v[52:53]
	v_add_f64 v[8:9], v[8:9], v[12:13]
	v_fma_f64 v[12:13], v[14:15], s[24:25], -v[16:17]
	v_add_f64 v[16:17], v[170:171], -v[56:57]
	v_add_f64 v[14:15], v[164:165], v[168:169]
	v_add_f64 v[10:11], v[10:11], v[12:13]
	;; [unrolled: 1-line block ×3, first 2 shown]
	v_mul_f64 v[56:57], v[18:19], s[22:23]
	v_fma_f64 v[58:59], v[12:13], s[2:3], -v[56:57]
	v_fma_f64 v[56:57], v[12:13], s[2:3], v[56:57]
	v_add_f64 v[22:23], v[58:59], v[22:23]
	v_mul_f64 v[58:59], v[16:17], s[22:23]
	v_add_f64 v[20:21], v[56:57], v[20:21]
	v_fma_f64 v[56:57], v[14:15], s[2:3], -v[58:59]
	v_fma_f64 v[60:61], v[14:15], s[2:3], v[58:59]
	v_add_f64 v[24:25], v[56:57], v[24:25]
	v_mul_f64 v[56:57], v[18:19], s[26:27]
	v_add_f64 v[26:27], v[60:61], v[26:27]
	v_fma_f64 v[58:59], v[12:13], s[20:21], -v[56:57]
	v_fma_f64 v[56:57], v[12:13], s[20:21], v[56:57]
	v_add_f64 v[30:31], v[58:59], v[30:31]
	v_mul_f64 v[58:59], v[16:17], s[26:27]
	v_add_f64 v[28:29], v[56:57], v[28:29]
	v_fma_f64 v[56:57], v[14:15], s[20:21], -v[58:59]
	v_fma_f64 v[60:61], v[14:15], s[20:21], v[58:59]
	v_add_f64 v[32:33], v[56:57], v[32:33]
	v_mul_f64 v[56:57], v[18:19], s[36:37]
	v_add_f64 v[34:35], v[60:61], v[34:35]
	v_fma_f64 v[58:59], v[12:13], s[24:25], -v[56:57]
	v_fma_f64 v[56:57], v[12:13], s[24:25], v[56:57]
	v_add_f64 v[38:39], v[58:59], v[38:39]
	v_mul_f64 v[58:59], v[16:17], s[36:37]
	v_add_f64 v[36:37], v[56:57], v[36:37]
	v_fma_f64 v[56:57], v[14:15], s[24:25], -v[58:59]
	v_fma_f64 v[60:61], v[14:15], s[24:25], v[58:59]
	v_add_f64 v[40:41], v[56:57], v[40:41]
	v_mul_f64 v[56:57], v[18:19], s[34:35]
	v_mul_f64 v[18:19], v[18:19], s[30:31]
	v_add_f64 v[42:43], v[60:61], v[42:43]
	v_fma_f64 v[58:59], v[12:13], s[14:15], -v[56:57]
	v_fma_f64 v[56:57], v[12:13], s[14:15], v[56:57]
	v_add_f64 v[46:47], v[58:59], v[46:47]
	v_mul_f64 v[58:59], v[16:17], s[34:35]
	v_add_f64 v[44:45], v[56:57], v[44:45]
	v_mul_f64 v[16:17], v[16:17], s[30:31]
	v_fma_f64 v[56:57], v[14:15], s[14:15], -v[58:59]
	v_fma_f64 v[60:61], v[14:15], s[14:15], v[58:59]
	v_add_f64 v[48:49], v[56:57], v[48:49]
	v_fma_f64 v[56:57], v[12:13], s[0:1], -v[18:19]
	v_fma_f64 v[12:13], v[12:13], s[0:1], v[18:19]
	v_add_f64 v[18:19], v[156:157], -v[160:161]
	v_add_f64 v[50:51], v[60:61], v[50:51]
	v_add_f64 v[52:53], v[56:57], v[52:53]
	v_fma_f64 v[56:57], v[14:15], s[0:1], v[16:17]
	v_add_f64 v[8:9], v[12:13], v[8:9]
	v_fma_f64 v[12:13], v[14:15], s[0:1], -v[16:17]
	v_add_f64 v[16:17], v[162:163], -v[166:167]
	v_add_f64 v[14:15], v[156:157], v[160:161]
	v_add_f64 v[54:55], v[56:57], v[54:55]
	v_mul_f64 v[56:57], v[18:19], s[16:17]
	v_add_f64 v[10:11], v[12:13], v[10:11]
	v_add_f64 v[12:13], v[162:163], v[166:167]
	v_fma_f64 v[58:59], v[12:13], s[14:15], -v[56:57]
	v_fma_f64 v[56:57], v[12:13], s[14:15], v[56:57]
	v_add_f64 v[22:23], v[58:59], v[22:23]
	v_mul_f64 v[58:59], v[16:17], s[16:17]
	v_add_f64 v[20:21], v[56:57], v[20:21]
	v_fma_f64 v[56:57], v[14:15], s[14:15], -v[58:59]
	v_fma_f64 v[60:61], v[14:15], s[14:15], v[58:59]
	v_add_f64 v[24:25], v[56:57], v[24:25]
	v_mul_f64 v[56:57], v[18:19], s[36:37]
	v_add_f64 v[26:27], v[60:61], v[26:27]
	v_fma_f64 v[58:59], v[12:13], s[24:25], -v[56:57]
	v_fma_f64 v[56:57], v[12:13], s[24:25], v[56:57]
	v_add_f64 v[30:31], v[58:59], v[30:31]
	v_mul_f64 v[58:59], v[16:17], s[36:37]
	v_add_f64 v[28:29], v[56:57], v[28:29]
	v_fma_f64 v[56:57], v[14:15], s[24:25], -v[58:59]
	v_fma_f64 v[60:61], v[14:15], s[24:25], v[58:59]
	v_add_f64 v[32:33], v[56:57], v[32:33]
	v_mul_f64 v[56:57], v[18:19], s[38:39]
	v_add_f64 v[34:35], v[60:61], v[34:35]
	v_fma_f64 v[58:59], v[12:13], s[2:3], -v[56:57]
	v_fma_f64 v[56:57], v[12:13], s[2:3], v[56:57]
	v_add_f64 v[38:39], v[58:59], v[38:39]
	v_mul_f64 v[58:59], v[16:17], s[38:39]
	v_add_f64 v[36:37], v[56:57], v[36:37]
	v_fma_f64 v[56:57], v[14:15], s[2:3], -v[58:59]
	v_fma_f64 v[60:61], v[14:15], s[2:3], v[58:59]
	v_add_f64 v[40:41], v[56:57], v[40:41]
	v_mul_f64 v[56:57], v[18:19], s[18:19]
	v_mul_f64 v[18:19], v[18:19], s[26:27]
	v_add_f64 v[42:43], v[60:61], v[42:43]
	v_fma_f64 v[58:59], v[12:13], s[0:1], -v[56:57]
	v_fma_f64 v[56:57], v[12:13], s[0:1], v[56:57]
	v_add_f64 v[46:47], v[58:59], v[46:47]
	v_mul_f64 v[58:59], v[16:17], s[18:19]
	v_add_f64 v[44:45], v[56:57], v[44:45]
	v_mul_f64 v[16:17], v[16:17], s[26:27]
	v_fma_f64 v[56:57], v[14:15], s[0:1], -v[58:59]
	v_fma_f64 v[60:61], v[14:15], s[0:1], v[58:59]
	v_add_f64 v[48:49], v[56:57], v[48:49]
	v_fma_f64 v[56:57], v[12:13], s[20:21], -v[18:19]
	v_fma_f64 v[12:13], v[12:13], s[20:21], v[18:19]
	v_add_f64 v[18:19], v[97:98], -v[112:113]
	v_add_f64 v[50:51], v[60:61], v[50:51]
	v_add_f64 v[52:53], v[56:57], v[52:53]
	v_fma_f64 v[56:57], v[14:15], s[20:21], v[16:17]
	v_add_f64 v[8:9], v[12:13], v[8:9]
	v_fma_f64 v[12:13], v[14:15], s[20:21], -v[16:17]
	v_add_f64 v[16:17], v[114:115], -v[158:159]
	v_add_f64 v[14:15], v[97:98], v[112:113]
	v_add_f64 v[54:55], v[56:57], v[54:55]
	v_mul_f64 v[56:57], v[18:19], s[26:27]
	v_add_f64 v[10:11], v[12:13], v[10:11]
	v_add_f64 v[12:13], v[114:115], v[158:159]
	v_fma_f64 v[58:59], v[12:13], s[20:21], -v[56:57]
	v_fma_f64 v[56:57], v[12:13], s[20:21], v[56:57]
	v_add_f64 v[22:23], v[58:59], v[22:23]
	v_mul_f64 v[58:59], v[16:17], s[26:27]
	v_add_f64 v[20:21], v[56:57], v[20:21]
	v_fma_f64 v[56:57], v[14:15], s[20:21], -v[58:59]
	v_fma_f64 v[60:61], v[14:15], s[20:21], v[58:59]
	v_add_f64 v[24:25], v[56:57], v[24:25]
	v_mul_f64 v[56:57], v[18:19], s[34:35]
	v_add_f64 v[26:27], v[60:61], v[26:27]
	v_fma_f64 v[58:59], v[12:13], s[14:15], -v[56:57]
	v_add_f64 v[58:59], v[58:59], v[30:31]
	v_mul_f64 v[30:31], v[16:17], s[34:35]
	v_fma_f64 v[60:61], v[14:15], s[14:15], v[30:31]
	v_fma_f64 v[30:31], v[14:15], s[14:15], -v[30:31]
	v_add_f64 v[60:61], v[60:61], v[34:35]
	v_fma_f64 v[34:35], v[12:13], s[14:15], v[56:57]
	v_add_f64 v[56:57], v[30:31], v[32:33]
	v_mul_f64 v[30:31], v[18:19], s[18:19]
	v_add_f64 v[28:29], v[34:35], v[28:29]
	v_fma_f64 v[32:33], v[12:13], s[0:1], -v[30:31]
	v_fma_f64 v[30:31], v[12:13], s[0:1], v[30:31]
	v_add_f64 v[62:63], v[32:33], v[38:39]
	v_mul_f64 v[32:33], v[16:17], s[18:19]
	v_add_f64 v[66:67], v[30:31], v[36:37]
	v_mul_f64 v[36:37], v[18:19], s[28:29]
	v_mul_f64 v[38:39], v[16:17], s[28:29]
	v_mul_f64 v[18:19], v[18:19], s[38:39]
	v_mul_f64 v[16:17], v[16:17], s[38:39]
	v_fma_f64 v[34:35], v[14:15], s[0:1], v[32:33]
	v_fma_f64 v[30:31], v[14:15], s[0:1], -v[32:33]
	v_fma_f64 v[32:33], v[12:13], s[24:25], -v[36:37]
	v_fma_f64 v[36:37], v[12:13], s[24:25], v[36:37]
	v_add_f64 v[64:65], v[34:35], v[42:43]
	v_add_f64 v[30:31], v[30:31], v[40:41]
	v_fma_f64 v[34:35], v[14:15], s[24:25], v[38:39]
	v_fma_f64 v[38:39], v[14:15], s[24:25], -v[38:39]
	v_fma_f64 v[40:41], v[12:13], s[2:3], -v[18:19]
	v_fma_f64 v[42:43], v[14:15], s[2:3], v[16:17]
	v_fma_f64 v[12:13], v[12:13], s[2:3], v[18:19]
	v_add_f64 v[36:37], v[36:37], v[44:45]
	v_add_f64 v[32:33], v[32:33], v[46:47]
	;; [unrolled: 1-line block ×8, first 2 shown]
	v_add_f64 v[52:53], v[92:93], -v[94:95]
	v_add_f64 v[54:55], v[88:89], -v[90:91]
	v_add_f64 v[88:89], v[74:75], v[172:173]
	v_add_f64 v[92:93], v[78:79], v[174:175]
	buffer_store_dword v172, off, s[40:43], 0 offset:380 ; 4-byte Folded Spill
	buffer_store_dword v173, off, s[40:43], 0 offset:384 ; 4-byte Folded Spill
	;; [unrolled: 1-line block ×8, first 2 shown]
	v_add_f64 v[90:91], v[70:71], v[176:177]
	v_add_f64 v[94:95], v[76:77], v[178:179]
	buffer_store_dword v176, off, s[40:43], 0 offset:396 ; 4-byte Folded Spill
	buffer_store_dword v177, off, s[40:43], 0 offset:400 ; 4-byte Folded Spill
	buffer_store_dword v178, off, s[40:43], 0 offset:404 ; 4-byte Folded Spill
	buffer_store_dword v179, off, s[40:43], 0 offset:408 ; 4-byte Folded Spill
	v_add_f64 v[44:45], v[12:13], v[8:9]
	v_fma_f64 v[8:9], v[14:15], s[2:3], -v[16:17]
	v_add_f64 v[46:47], v[8:9], v[10:11]
	v_mul_f64 v[8:9], v[54:55], s[28:29]
	v_fma_f64 v[10:11], v[50:51], s[24:25], -v[8:9]
	v_fma_f64 v[8:9], v[50:51], s[24:25], v[8:9]
	v_add_f64 v[12:13], v[10:11], v[22:23]
	v_mul_f64 v[22:23], v[52:53], s[30:31]
	v_mul_f64 v[10:11], v[52:53], s[28:29]
	v_add_f64 v[8:9], v[8:9], v[20:21]
	v_mul_f64 v[20:21], v[54:55], s[30:31]
	v_fma_f64 v[18:19], v[48:49], s[0:1], v[22:23]
	v_fma_f64 v[22:23], v[48:49], s[0:1], -v[22:23]
	v_fma_f64 v[14:15], v[48:49], s[24:25], v[10:11]
	v_fma_f64 v[16:17], v[50:51], s[0:1], -v[20:21]
	;; [unrolled: 2-line block ×3, first 2 shown]
	v_add_f64 v[18:19], v[18:19], v[60:61]
	v_add_f64 v[22:23], v[22:23], v[56:57]
	v_mul_f64 v[56:57], v[52:53], s[26:27]
	v_add_f64 v[14:15], v[14:15], v[26:27]
	v_add_f64 v[16:17], v[16:17], v[58:59]
	;; [unrolled: 1-line block ×3, first 2 shown]
	v_mul_f64 v[28:29], v[54:55], s[26:27]
	v_add_f64 v[10:11], v[10:11], v[24:25]
	v_fma_f64 v[26:27], v[48:49], s[20:21], v[56:57]
	v_fma_f64 v[56:57], v[48:49], s[20:21], -v[56:57]
	v_fma_f64 v[24:25], v[50:51], s[20:21], -v[28:29]
	v_fma_f64 v[28:29], v[50:51], s[20:21], v[28:29]
	v_add_f64 v[26:27], v[26:27], v[64:65]
	v_add_f64 v[30:31], v[56:57], v[30:31]
	v_mul_f64 v[56:57], v[54:55], s[38:39]
	v_mul_f64 v[54:55], v[54:55], s[16:17]
	v_add_f64 v[24:25], v[24:25], v[62:63]
	v_add_f64 v[28:29], v[28:29], v[66:67]
	v_fma_f64 v[58:59], v[50:51], s[2:3], -v[56:57]
	v_fma_f64 v[56:57], v[50:51], s[2:3], v[56:57]
	v_add_f64 v[32:33], v[58:59], v[32:33]
	v_mul_f64 v[58:59], v[52:53], s[38:39]
	v_add_f64 v[36:37], v[56:57], v[36:37]
	v_mul_f64 v[52:53], v[52:53], s[16:17]
	v_fma_f64 v[56:57], v[48:49], s[2:3], -v[58:59]
	v_fma_f64 v[60:61], v[48:49], s[2:3], v[58:59]
	v_add_f64 v[38:39], v[56:57], v[38:39]
	v_fma_f64 v[56:57], v[50:51], s[14:15], -v[54:55]
	v_fma_f64 v[50:51], v[50:51], s[14:15], v[54:55]
	v_add_f64 v[34:35], v[60:61], v[34:35]
	v_add_f64 v[40:41], v[56:57], v[40:41]
	v_fma_f64 v[56:57], v[48:49], s[14:15], v[52:53]
	v_fma_f64 v[48:49], v[48:49], s[14:15], -v[52:53]
	v_add_f64 v[44:45], v[50:51], v[44:45]
	v_add_f64 v[42:43], v[56:57], v[42:43]
	;; [unrolled: 1-line block ×3, first 2 shown]
	v_add_f64 v[112:113], v[74:75], -v[172:173]
	v_add_f64 v[114:115], v[78:79], -v[174:175]
	v_mov_b32_e32 v79, v77
	v_mov_b32_e32 v78, v76
	v_add_f64 v[97:98], v[70:71], -v[176:177]
	v_add_f64 v[174:175], v[76:77], -v[178:179]
	v_add_f64 v[178:179], v[194:195], v[68:69]
	buffer_store_dword v68, off, s[40:43], 0 offset:364 ; 4-byte Folded Spill
	buffer_store_dword v69, off, s[40:43], 0 offset:368 ; 4-byte Folded Spill
	;; [unrolled: 1-line block ×4, first 2 shown]
	v_mov_b32_e32 v76, v194
	v_mov_b32_e32 v77, v195
	;; [unrolled: 1-line block ×6, first 2 shown]
	v_mul_f64 v[158:159], v[112:113], s[18:19]
	v_mul_f64 v[156:157], v[114:115], s[18:19]
	;; [unrolled: 1-line block ×16, first 2 shown]
	v_fma_f64 v[50:51], v[92:93], s[0:1], -v[158:159]
	v_fma_f64 v[48:49], v[88:89], s[0:1], v[156:157]
	v_fma_f64 v[52:53], v[88:89], s[2:3], v[160:161]
	v_fma_f64 v[54:55], v[92:93], s[2:3], -v[164:165]
	v_fma_f64 v[64:65], v[90:91], s[2:3], v[172:173]
	v_fma_f64 v[56:57], v[88:89], s[14:15], v[162:163]
	v_fma_f64 v[58:59], v[92:93], s[14:15], -v[168:169]
	v_fma_f64 v[60:61], v[88:89], s[20:21], v[166:167]
	v_fma_f64 v[62:63], v[92:93], s[20:21], -v[170:171]
	v_add_f64 v[50:51], v[2:3], v[50:51]
	v_add_f64 v[48:49], v[0:1], v[48:49]
	;; [unrolled: 1-line block ×9, first 2 shown]
	v_fma_f64 v[64:65], v[94:95], s[2:3], -v[176:177]
	v_add_f64 v[50:51], v[64:65], v[50:51]
	v_fma_f64 v[64:65], v[90:91], s[20:21], v[182:183]
	v_add_f64 v[52:53], v[64:65], v[52:53]
	v_fma_f64 v[64:65], v[94:95], s[20:21], -v[184:185]
	v_add_f64 v[54:55], v[64:65], v[54:55]
	v_fma_f64 v[64:65], v[90:91], s[24:25], v[186:187]
	v_add_f64 v[56:57], v[64:65], v[56:57]
	;; [unrolled: 4-line block ×3, first 2 shown]
	v_fma_f64 v[64:65], v[94:95], s[14:15], -v[192:193]
	v_add_f64 v[62:63], v[64:65], v[62:63]
	v_add_f64 v[194:195], v[194:195], -v[68:69]
	v_add_f64 v[196:197], v[198:199], -v[196:197]
	v_add_f64 v[198:199], v[202:203], v[200:201]
	v_mul_f64 v[220:221], v[194:195], s[16:17]
	v_mul_f64 v[208:209], v[196:197], s[16:17]
	;; [unrolled: 1-line block ×8, first 2 shown]
	v_fma_f64 v[64:65], v[178:179], s[14:15], v[208:209]
	v_add_f64 v[48:49], v[64:65], v[48:49]
	v_fma_f64 v[64:65], v[180:181], s[14:15], -v[220:221]
	v_add_f64 v[50:51], v[64:65], v[50:51]
	v_fma_f64 v[64:65], v[178:179], s[24:25], v[222:223]
	v_add_f64 v[52:53], v[64:65], v[52:53]
	v_fma_f64 v[64:65], v[180:181], s[24:25], -v[224:225]
	v_add_f64 v[54:55], v[64:65], v[54:55]
	;; [unrolled: 4-line block ×5, first 2 shown]
	v_fma_f64 v[48:49], v[198:199], s[14:15], v[244:245]
	v_mul_f64 v[50:51], v[238:239], s[28:29]
	v_add_f64 v[68:69], v[48:49], v[52:53]
	v_fma_f64 v[48:49], v[210:211], s[14:15], -v[246:247]
	v_mul_f64 v[52:53], v[250:251], s[28:29]
	v_add_f64 v[107:108], v[48:49], v[54:55]
	v_fma_f64 v[48:49], v[198:199], s[0:1], v[248:249]
	v_add_f64 v[54:55], v[100:101], -v[72:73]
	v_add_f64 v[109:110], v[48:49], v[56:57]
	v_fma_f64 v[48:49], v[210:211], s[0:1], -v[252:253]
	v_add_f64 v[200:201], v[48:49], v[58:59]
	v_fma_f64 v[48:49], v[198:199], s[24:25], v[50:51]
	v_add_f64 v[202:203], v[48:49], v[60:61]
	v_fma_f64 v[48:49], v[210:211], s[24:25], -v[52:53]
	v_add_f64 v[60:61], v[82:83], -v[254:255]
	v_mul_f64 v[254:255], v[54:55], s[28:29]
	v_add_f64 v[214:215], v[48:49], v[62:63]
	v_mul_f64 v[48:49], v[60:61], s[28:29]
	v_fma_f64 v[56:57], v[228:229], s[24:25], v[254:255]
	v_mul_f64 v[58:59], v[60:61], s[30:31]
	v_add_f64 v[62:63], v[56:57], v[64:65]
	v_fma_f64 v[56:57], v[234:235], s[24:25], -v[48:49]
	v_add_f64 v[64:65], v[56:57], v[66:67]
	v_mul_f64 v[56:57], v[54:55], s[30:31]
	buffer_store_dword v62, off, s[40:43], 0 offset:4 ; 4-byte Folded Spill
	buffer_store_dword v63, off, s[40:43], 0 offset:8 ; 4-byte Folded Spill
	;; [unrolled: 1-line block ×4, first 2 shown]
	v_fma_f64 v[62:63], v[228:229], s[0:1], v[56:57]
	v_add_f64 v[64:65], v[62:63], v[68:69]
	v_fma_f64 v[62:63], v[234:235], s[0:1], -v[58:59]
	v_mul_f64 v[68:69], v[60:61], s[38:39]
	v_add_f64 v[66:67], v[62:63], v[107:108]
	v_mul_f64 v[62:63], v[54:55], s[26:27]
	buffer_store_dword v64, off, s[40:43], 0 offset:20 ; 4-byte Folded Spill
	buffer_store_dword v65, off, s[40:43], 0 offset:24 ; 4-byte Folded Spill
	buffer_store_dword v66, off, s[40:43], 0 offset:28 ; 4-byte Folded Spill
	buffer_store_dword v67, off, s[40:43], 0 offset:32 ; 4-byte Folded Spill
	v_mul_f64 v[64:65], v[60:61], s[26:27]
	v_fma_f64 v[66:67], v[228:229], s[20:21], v[62:63]
	v_add_f64 v[107:108], v[66:67], v[109:110]
	v_fma_f64 v[66:67], v[234:235], s[20:21], -v[64:65]
	v_add_f64 v[109:110], v[66:67], v[200:201]
	v_mul_f64 v[66:67], v[54:55], s[38:39]
	buffer_store_dword v107, off, s[40:43], 0 offset:36 ; 4-byte Folded Spill
	buffer_store_dword v108, off, s[40:43], 0 offset:40 ; 4-byte Folded Spill
	;; [unrolled: 1-line block ×4, first 2 shown]
	v_fma_f64 v[107:108], v[228:229], s[2:3], v[66:67]
	v_add_f64 v[200:201], v[107:108], v[202:203]
	v_fma_f64 v[107:108], v[234:235], s[2:3], -v[68:69]
	v_add_f64 v[202:203], v[107:108], v[214:215]
	buffer_store_dword v200, off, s[40:43], 0 offset:52 ; 4-byte Folded Spill
	buffer_store_dword v201, off, s[40:43], 0 offset:56 ; 4-byte Folded Spill
	;; [unrolled: 1-line block ×4, first 2 shown]
	s_waitcnt_vscnt null, 0x0
	s_barrier
	buffer_gl0_inv
	buffer_load_dword v200, off, s[40:43], 0 offset:424 ; 4-byte Folded Reload
	v_mov_b32_e32 v107, 0x42
	v_mul_u32_u24_sdwa v103, v103, v107 dst_sel:DWORD dst_unused:UNUSED_PAD src0_sel:WORD_0 src1_sel:DWORD
	v_add_nc_u32_sdwa v103, v103, v106 dst_sel:DWORD dst_unused:UNUSED_PAD src0_sel:DWORD src1_sel:BYTE_0
	s_waitcnt vmcnt(0)
	v_lshlrev_b32_e32 v106, 4, v200
	v_lshl_add_u32 v103, v103, 4, v106
	ds_write_b128 v103, v[4:7]
	ds_write_b128 v103, v[12:15] offset:96
	ds_write_b128 v103, v[16:19] offset:192
	;; [unrolled: 1-line block ×10, first 2 shown]
	s_and_saveexec_b32 s33, vcc_lo
	s_cbranch_execz .LBB0_5
; %bb.4:
	s_clause 0x3
	buffer_load_dword v28, off, s[40:43], 0 offset:600
	buffer_load_dword v29, off, s[40:43], 0 offset:604
	;; [unrolled: 1-line block ×4, first 2 shown]
	v_mul_f64 v[4:5], v[92:93], s[24:25]
	v_mul_f64 v[8:9], v[92:93], s[20:21]
	;; [unrolled: 1-line block ×20, first 2 shown]
	v_fma_f64 v[6:7], v[112:113], s[36:37], v[4:5]
	v_fma_f64 v[4:5], v[112:113], s[28:29], v[4:5]
	v_add_f64 v[8:9], v[170:171], v[8:9]
	v_add_f64 v[10:11], v[168:169], v[10:11]
	;; [unrolled: 1-line block ×4, first 2 shown]
	v_add_f64 v[16:17], v[16:17], -v[156:157]
	v_add_f64 v[18:19], v[18:19], -v[160:161]
	;; [unrolled: 1-line block ×4, first 2 shown]
	v_fma_f64 v[26:27], v[88:89], s[24:25], v[24:25]
	v_fma_f64 v[24:25], v[88:89], s[24:25], -v[24:25]
	v_add_f64 v[44:45], v[192:193], v[44:45]
	v_add_f64 v[46:47], v[46:47], -v[190:191]
	v_mul_f64 v[156:157], v[210:211], s[24:25]
	v_add_f64 v[92:93], v[92:93], -v[232:233]
	v_add_f64 v[110:111], v[110:111], -v[222:223]
	v_mul_f64 v[88:89], v[90:91], s[2:3]
	v_fma_f64 v[42:43], v[97:98], s[18:19], v[40:41]
	v_fma_f64 v[40:41], v[97:98], s[30:31], v[40:41]
	;; [unrolled: 1-line block ×3, first 2 shown]
	s_mov_b32 s23, 0x3fe82f19
	v_add_f64 v[6:7], v[2:3], v[6:7]
	v_add_f64 v[4:5], v[2:3], v[4:5]
	;; [unrolled: 1-line block ×5, first 2 shown]
	s_mov_b32 s22, s26
	v_fma_f64 v[32:33], v[250:251], s[38:39], v[32:33]
	v_fma_f64 v[38:39], v[194:195], s[22:23], v[36:37]
	;; [unrolled: 1-line block ×3, first 2 shown]
	v_add_f64 v[108:109], v[224:225], v[108:109]
	v_add_f64 v[26:27], v[0:1], v[26:27]
	v_add_f64 v[114:115], v[114:115], -v[208:209]
	v_add_f64 v[72:73], v[72:73], -v[186:187]
	v_mul_f64 v[97:98], v[178:179], s[2:3]
	v_add_f64 v[52:53], v[52:53], v[156:157]
	v_mul_f64 v[156:157], v[198:199], s[24:25]
	v_add_f64 v[88:89], v[88:89], -v[172:173]
	v_add_f64 v[6:7], v[42:43], v[6:7]
	v_add_f64 v[4:5], v[40:41], v[4:5]
	;; [unrolled: 1-line block ×3, first 2 shown]
	v_mul_f64 v[44:45], v[198:199], s[14:15]
	v_mul_f64 v[42:43], v[210:211], s[14:15]
	;; [unrolled: 1-line block ×3, first 2 shown]
	v_add_f64 v[97:98], v[97:98], -v[226:227]
	v_add_f64 v[50:51], v[156:157], -v[50:51]
	v_mul_f64 v[156:157], v[210:211], s[0:1]
	v_add_f64 v[6:7], v[38:39], v[6:7]
	v_add_f64 v[4:5], v[36:37], v[4:5]
	v_mul_f64 v[36:37], v[234:235], s[2:3]
	v_add_f64 v[44:45], v[44:45], -v[244:245]
	v_add_f64 v[42:43], v[246:247], v[42:43]
	v_mul_f64 v[38:39], v[228:229], s[2:3]
	v_add_f64 v[40:41], v[40:41], -v[248:249]
	v_add_f64 v[156:157], v[252:253], v[156:157]
	v_add_f64 v[6:7], v[34:35], v[6:7]
	;; [unrolled: 1-line block ×4, first 2 shown]
	v_mul_f64 v[68:69], v[234:235], s[0:1]
	v_add_f64 v[38:39], v[38:39], -v[66:67]
	v_mul_f64 v[66:67], v[228:229], s[20:21]
	v_add_f64 v[58:59], v[58:59], v[68:69]
	v_add_f64 v[62:63], v[66:67], -v[62:63]
	s_waitcnt vmcnt(2)
	v_add_f64 v[28:29], v[2:3], v[28:29]
	v_add_f64 v[2:3], v[2:3], v[14:15]
	;; [unrolled: 1-line block ×6, first 2 shown]
	s_waitcnt vmcnt(0)
	v_add_f64 v[30:31], v[0:1], v[30:31]
	v_add_f64 v[0:1], v[0:1], v[24:25]
	;; [unrolled: 1-line block ×3, first 2 shown]
	v_mul_f64 v[28:29], v[234:235], s[14:15]
	v_mul_f64 v[78:79], v[94:95], s[2:3]
	v_add_f64 v[14:15], v[88:89], v[14:15]
	v_add_f64 v[18:19], v[72:73], v[18:19]
	;; [unrolled: 1-line block ×4, first 2 shown]
	v_mul_f64 v[74:75], v[94:95], s[20:21]
	v_mul_f64 v[46:47], v[54:55], s[16:17]
	;; [unrolled: 1-line block ×4, first 2 shown]
	v_add_f64 v[22:23], v[22:23], v[80:81]
	v_mul_f64 v[80:81], v[174:175], s[30:31]
	v_fma_f64 v[30:31], v[60:61], s[34:35], v[28:29]
	v_fma_f64 v[28:29], v[60:61], s[16:17], v[28:29]
	v_mul_f64 v[60:61], v[94:95], s[24:25]
	v_add_f64 v[20:21], v[92:93], v[20:21]
	v_add_f64 v[24:25], v[24:25], v[76:77]
	v_mul_f64 v[76:77], v[90:91], s[20:21]
	v_add_f64 v[74:75], v[184:185], v[74:75]
	v_add_f64 v[78:79], v[176:177], v[78:79]
	;; [unrolled: 3-line block ×3, first 2 shown]
	v_add_f64 v[18:19], v[97:98], v[18:19]
	v_add_f64 v[56:57], v[72:73], -v[56:57]
	v_add_f64 v[22:23], v[22:23], v[218:219]
	v_fma_f64 v[82:83], v[90:91], s[0:1], v[80:81]
	v_fma_f64 v[80:81], v[90:91], s[0:1], -v[80:81]
	v_mul_f64 v[90:91], v[180:181], s[0:1]
	v_add_f64 v[60:61], v[188:189], v[60:61]
	v_add_f64 v[24:25], v[24:25], v[206:207]
	v_add_f64 v[76:77], v[76:77], -v[182:183]
	v_add_f64 v[12:13], v[74:75], v[12:13]
	v_add_f64 v[2:3], v[78:79], v[2:3]
	;; [unrolled: 1-line block ×3, first 2 shown]
	v_mul_f64 v[78:79], v[198:199], s[20:21]
	v_add_f64 v[40:41], v[40:41], v[18:19]
	v_add_f64 v[22:23], v[22:23], v[84:85]
	;; [unrolled: 1-line block ×3, first 2 shown]
	s_clause 0x1
	buffer_load_dword v82, off, s[40:43], 0 offset:372
	buffer_load_dword v83, off, s[40:43], 0 offset:376
	v_add_f64 v[0:1], v[80:81], v[0:1]
	v_add_f64 v[90:91], v[236:237], v[90:91]
	v_mul_f64 v[84:85], v[180:181], s[14:15]
	v_add_f64 v[24:25], v[24:25], v[86:87]
	v_mul_f64 v[86:87], v[196:197], s[26:27]
	v_add_f64 v[16:17], v[76:77], v[16:17]
	v_add_f64 v[10:11], v[60:61], v[10:11]
	v_mul_f64 v[60:61], v[210:211], s[20:21]
	v_add_f64 v[78:79], v[78:79], -v[240:241]
	v_add_f64 v[12:13], v[108:109], v[12:13]
	v_mul_f64 v[76:77], v[234:235], s[24:25]
	v_mul_f64 v[80:81], v[228:229], s[24:25]
	v_add_f64 v[22:23], v[22:23], v[212:213]
	v_add_f64 v[8:9], v[90:91], v[8:9]
	;; [unrolled: 1-line block ×4, first 2 shown]
	v_fma_f64 v[112:113], v[178:179], s[20:21], v[86:87]
	v_fma_f64 v[86:87], v[178:179], s[20:21], -v[86:87]
	v_mul_f64 v[70:71], v[238:239], s[38:39]
	v_add_f64 v[16:17], v[110:111], v[16:17]
	v_add_f64 v[60:61], v[242:243], v[60:61]
	;; [unrolled: 1-line block ×6, first 2 shown]
	v_add_f64 v[64:65], v[80:81], -v[254:255]
	v_add_f64 v[22:23], v[22:23], v[216:217]
	v_add_f64 v[8:9], v[52:53], v[8:9]
	;; [unrolled: 1-line block ×6, first 2 shown]
	v_fma_f64 v[74:75], v[198:199], s[2:3], v[70:71]
	v_fma_f64 v[70:71], v[198:199], s[2:3], -v[70:71]
	v_add_f64 v[16:17], v[44:45], v[16:17]
	v_add_f64 v[44:45], v[50:51], v[20:21]
	;; [unrolled: 1-line block ×15, first 2 shown]
	s_waitcnt vmcnt(0)
	v_add_f64 v[22:23], v[22:23], v[82:83]
	s_clause 0x3
	buffer_load_dword v82, off, s[40:43], 0 offset:364
	buffer_load_dword v83, off, s[40:43], 0 offset:368
	;; [unrolled: 1-line block ×4, first 2 shown]
	s_waitcnt vmcnt(2)
	v_add_f64 v[24:25], v[24:25], v[82:83]
	s_waitcnt vmcnt(0)
	v_add_f64 v[52:53], v[22:23], v[0:1]
	s_clause 0x1
	buffer_load_dword v0, off, s[40:43], 0 offset:396
	buffer_load_dword v1, off, s[40:43], 0 offset:400
	v_fma_f64 v[82:83], v[228:229], s[14:15], v[46:47]
	v_fma_f64 v[46:47], v[228:229], s[14:15], -v[46:47]
	v_add_f64 v[22:23], v[48:49], v[34:35]
	v_add_f64 v[4:5], v[46:47], v[50:51]
	s_waitcnt vmcnt(0)
	v_add_f64 v[24:25], v[24:25], v[0:1]
	buffer_load_dword v0, off, s[40:43], 0 offset:360 ; 4-byte Folded Reload
	s_waitcnt vmcnt(0)
	v_mul_u32_u24_sdwa v60, v0, v107 dst_sel:DWORD dst_unused:UNUSED_PAD src0_sel:WORD_0 src1_sel:DWORD
	v_add_f64 v[0:1], v[82:83], v[26:27]
	s_clause 0x3
	buffer_load_dword v26, off, s[40:43], 0 offset:388
	buffer_load_dword v27, off, s[40:43], 0 offset:392
	;; [unrolled: 1-line block ×4, first 2 shown]
	s_waitcnt vmcnt(2)
	v_add_f64 v[26:27], v[52:53], v[26:27]
	s_waitcnt vmcnt(0)
	v_add_f64 v[24:25], v[24:25], v[28:29]
	s_clause 0x4
	buffer_load_dword v28, off, s[40:43], 0 offset:356
	buffer_load_dword v29, off, s[40:43], 0 offset:52
	;; [unrolled: 1-line block ×5, first 2 shown]
	s_waitcnt vmcnt(4)
	v_add_nc_u32_sdwa v28, v60, v28 dst_sel:DWORD dst_unused:UNUSED_PAD src0_sel:DWORD src1_sel:BYTE_0
	v_lshl_add_u32 v28, v28, 4, v106
	s_waitcnt vmcnt(0)
	ds_write_b128 v28, v[29:32] offset:672
	s_clause 0x3
	buffer_load_dword v29, off, s[40:43], 0 offset:36
	buffer_load_dword v30, off, s[40:43], 0 offset:40
	;; [unrolled: 1-line block ×4, first 2 shown]
	s_waitcnt vmcnt(0)
	ds_write_b128 v28, v[29:32] offset:768
	s_clause 0x3
	buffer_load_dword v29, off, s[40:43], 0 offset:20
	buffer_load_dword v30, off, s[40:43], 0 offset:24
	;; [unrolled: 1-line block ×4, first 2 shown]
	s_waitcnt vmcnt(0)
	ds_write_b128 v28, v[29:32] offset:864
	ds_write_b128 v28, v[20:23] offset:96
	;; [unrolled: 1-line block ×7, first 2 shown]
	ds_write_b128 v28, v[24:27]
	s_clause 0x3
	buffer_load_dword v0, off, s[40:43], 0 offset:4
	buffer_load_dword v1, off, s[40:43], 0 offset:8
	;; [unrolled: 1-line block ×4, first 2 shown]
	s_waitcnt vmcnt(0)
	ds_write_b128 v28, v[0:3] offset:960
.LBB0_5:
	s_or_b32 exec_lo, exec_lo, s33
	buffer_load_dword v85, off, s[40:43], 0 ; 4-byte Folded Reload
	s_waitcnt vmcnt(0) lgkmcnt(0)
	s_barrier
	buffer_gl0_inv
	v_and_b32_e32 v0, 0xff, v104
	v_mov_b32_e32 v2, 0xf83f
	v_mov_b32_e32 v10, 4
	s_mov_b32 s2, 0xe8584caa
	s_mov_b32 s3, 0x3febb67a
	v_mul_lo_u16 v0, 0xf9, v0
	s_mov_b32 s15, 0xbfebb67a
	s_mov_b32 s14, s2
	v_lshrrev_b16 v6, 14, v0
	v_mul_lo_u16 v6, 0x42, v6
	v_sub_nc_u16 v6, v104, v6
	v_lshlrev_b32_sdwa v15, v10, v6 dst_sel:DWORD dst_unused:UNUSED_PAD src0_sel:DWORD src1_sel:BYTE_0
	global_load_dwordx4 v[180:183], v15, s[10:11] offset:960
	v_lshlrev_b32_e32 v64, 4, v85
	v_add_co_u32 v4, null, 0xc6, v85
	v_add_co_u32 v8, null, 0x108, v85
	global_load_dwordx4 v[112:115], v64, s[10:11] offset:960
	v_mul_u32_u24_sdwa v5, v4, v2 dst_sel:DWORD dst_unused:UNUSED_PAD src0_sel:WORD_0 src1_sel:DWORD
	v_add_nc_u32_e32 v1, 0x18c, v85
	v_mul_u32_u24_sdwa v0, v8, v2 dst_sel:DWORD dst_unused:UNUSED_PAD src0_sel:WORD_0 src1_sel:DWORD
	v_add_co_u32 v16, null, 0x14a, v85
	v_lshrrev_b32_e32 v5, 22, v5
	v_add_nc_u32_e32 v3, 0x1ce, v85
	v_lshrrev_b32_e32 v11, 22, v0
	v_add_nc_u32_e32 v9, 0x210, v85
	v_mul_u32_u24_sdwa v7, v16, v2 dst_sel:DWORD dst_unused:UNUSED_PAD src0_sel:WORD_0 src1_sel:DWORD
	v_mul_lo_u16 v5, 0x42, v5
	v_mul_u32_u24_sdwa v12, v1, v2 dst_sel:DWORD dst_unused:UNUSED_PAD src0_sel:WORD_0 src1_sel:DWORD
	v_mul_lo_u16 v11, 0x42, v11
	v_mul_u32_u24_sdwa v13, v3, v2 dst_sel:DWORD dst_unused:UNUSED_PAD src0_sel:WORD_0 src1_sel:DWORD
	v_mul_u32_u24_sdwa v2, v9, v2 dst_sel:DWORD dst_unused:UNUSED_PAD src0_sel:WORD_0 src1_sel:DWORD
	v_sub_nc_u16 v5, v4, v5
	v_lshrrev_b32_e32 v6, 22, v7
	v_sub_nc_u16 v11, v8, v11
	v_lshrrev_b32_e32 v0, 23, v0
	v_lshrrev_b32_e32 v2, 22, v2
	v_lshlrev_b32_sdwa v63, v10, v5 dst_sel:DWORD dst_unused:UNUSED_PAD src0_sel:DWORD src1_sel:WORD_0
	v_lshrrev_b32_e32 v5, 22, v12
	v_lshlrev_b32_sdwa v81, v10, v11 dst_sel:DWORD dst_unused:UNUSED_PAD src0_sel:DWORD src1_sel:WORD_0
	v_lshrrev_b32_e32 v11, 22, v13
	v_mul_lo_u16 v6, 0x42, v6
	global_load_dwordx4 v[172:175], v63, s[10:11] offset:960
	v_mul_lo_u16 v5, 0x42, v5
	global_load_dwordx4 v[176:179], v81, s[10:11] offset:960
	v_mul_lo_u16 v11, 0x42, v11
	v_sub_nc_u16 v6, v16, v6
	v_mul_lo_u16 v2, 0x42, v2
	v_sub_nc_u16 v1, v1, v5
	;; [unrolled: 2-line block ×3, first 2 shown]
	v_lshlrev_b32_sdwa v82, v10, v6 dst_sel:DWORD dst_unused:UNUSED_PAD src0_sel:DWORD src1_sel:WORD_0
	v_lshrrev_b32_e32 v7, 23, v7
	v_lshlrev_b32_sdwa v83, v10, v1 dst_sel:DWORD dst_unused:UNUSED_PAD src0_sel:DWORD src1_sel:WORD_0
	v_sub_nc_u16 v1, v9, v2
	v_lshlrev_b32_sdwa v3, v10, v3 dst_sel:DWORD dst_unused:UNUSED_PAD src0_sel:DWORD src1_sel:WORD_0
	global_load_dwordx4 v[188:191], v82, s[10:11] offset:960
	v_mul_lo_u16 v7, 0x84, v7
	global_load_dwordx4 v[184:187], v83, s[10:11] offset:960
	v_lshlrev_b32_sdwa v84, v10, v1 dst_sel:DWORD dst_unused:UNUSED_PAD src0_sel:DWORD src1_sel:WORD_0
	s_clause 0x1
	global_load_dwordx4 v[196:199], v3, s[10:11] offset:960
	global_load_dwordx4 v[192:195], v84, s[10:11] offset:960
	ds_read_b128 v[9:12], v99 offset:9504
	ds_read_b128 v[17:20], v99 offset:10560
	;; [unrolled: 1-line block ×5, first 2 shown]
	v_sub_nc_u16 v7, v16, v7
	v_lshlrev_b32_e32 v4, 5, v4
	v_lshlrev_b32_e32 v16, 5, v16
	s_waitcnt vmcnt(7) lgkmcnt(2)
	v_mul_f64 v[55:56], v[23:24], v[182:183]
	v_mul_f64 v[57:58], v[21:22], v[182:183]
	v_fma_f64 v[71:72], v[21:22], v[180:181], -v[55:56]
	v_fma_f64 v[57:58], v[23:24], v[180:181], v[57:58]
	s_waitcnt vmcnt(6)
	v_mul_f64 v[1:2], v[11:12], v[114:115]
	v_mul_f64 v[5:6], v[9:10], v[114:115]
	;; [unrolled: 1-line block ×4, first 2 shown]
	v_fma_f64 v[1:2], v[9:10], v[112:113], -v[1:2]
	v_fma_f64 v[5:6], v[11:12], v[112:113], v[5:6]
	ds_read_b128 v[9:12], v99
	ds_read_b128 v[33:36], v99 offset:14784
	ds_read_b128 v[37:40], v99 offset:15840
	s_waitcnt vmcnt(5) lgkmcnt(4)
	v_mul_f64 v[59:60], v[27:28], v[174:175]
	v_mul_f64 v[61:62], v[25:26], v[174:175]
	ds_read_b128 v[41:44], v99 offset:16896
	ds_read_b128 v[45:48], v99 offset:17952
	s_waitcnt vmcnt(4) lgkmcnt(5)
	v_mul_f64 v[65:66], v[31:32], v[178:179]
	v_mul_f64 v[67:68], v[29:30], v[178:179]
	s_waitcnt lgkmcnt(4)
	v_add_f64 v[49:50], v[9:10], -v[1:2]
	v_add_f64 v[51:52], v[11:12], -v[5:6]
	v_fma_f64 v[1:2], v[17:18], v[112:113], -v[13:14]
	v_fma_f64 v[5:6], v[19:20], v[112:113], v[53:54]
	ds_read_b128 v[17:20], v99 offset:1056
	s_waitcnt vmcnt(3) lgkmcnt(4)
	v_mul_f64 v[13:14], v[35:36], v[190:191]
	s_waitcnt vmcnt(2) lgkmcnt(3)
	v_mul_f64 v[69:70], v[39:40], v[186:187]
	v_mul_f64 v[55:56], v[37:38], v[186:187]
	;; [unrolled: 1-line block ×3, first 2 shown]
	s_waitcnt vmcnt(1) lgkmcnt(2)
	v_mul_f64 v[73:74], v[43:44], v[198:199]
	v_mul_f64 v[75:76], v[41:42], v[198:199]
	s_waitcnt vmcnt(0) lgkmcnt(1)
	v_mul_f64 v[77:78], v[47:48], v[194:195]
	v_mul_f64 v[79:80], v[45:46], v[194:195]
	v_fma_f64 v[59:60], v[25:26], v[172:173], -v[59:60]
	v_fma_f64 v[61:62], v[27:28], v[172:173], v[61:62]
	ds_read_b128 v[25:28], v99 offset:2112
	v_fma_f64 v[65:66], v[29:30], v[176:177], -v[65:66]
	v_fma_f64 v[67:68], v[31:32], v[176:177], v[67:68]
	ds_read_b128 v[29:32], v99 offset:3168
	v_fma_f64 v[9:10], v[9:10], 2.0, -v[49:50]
	v_fma_f64 v[11:12], v[11:12], 2.0, -v[51:52]
	s_waitcnt lgkmcnt(2)
	v_add_f64 v[21:22], v[17:18], -v[1:2]
	v_add_f64 v[23:24], v[19:20], -v[5:6]
	v_fma_f64 v[1:2], v[33:34], v[188:189], -v[13:14]
	v_fma_f64 v[13:14], v[37:38], v[184:185], -v[69:70]
	v_fma_f64 v[69:70], v[39:40], v[184:185], v[55:56]
	v_fma_f64 v[5:6], v[35:36], v[188:189], v[53:54]
	ds_read_b128 v[33:36], v99 offset:4224
	v_fma_f64 v[73:74], v[41:42], v[196:197], -v[73:74]
	v_fma_f64 v[75:76], v[43:44], v[196:197], v[75:76]
	v_fma_f64 v[77:78], v[45:46], v[192:193], -v[77:78]
	v_fma_f64 v[79:80], v[47:48], v[192:193], v[79:80]
	ds_read_b128 v[37:40], v99 offset:5280
	ds_read_b128 v[41:44], v99 offset:6336
	;; [unrolled: 1-line block ×4, first 2 shown]
	s_waitcnt lgkmcnt(0)
	s_barrier
	buffer_gl0_inv
	ds_write_b128 v99, v[49:52] offset:1056
	ds_write_b128 v99, v[21:24] offset:3168
	ds_write_b128 v99, v[9:12]
	v_add_f64 v[9:10], v[25:26], -v[71:72]
	v_add_f64 v[11:12], v[27:28], -v[57:58]
	v_fma_f64 v[17:18], v[17:18], 2.0, -v[21:22]
	v_fma_f64 v[19:20], v[19:20], 2.0, -v[23:24]
	v_add_f64 v[49:50], v[33:34], -v[65:66]
	v_add_f64 v[51:52], v[35:36], -v[67:68]
	;; [unrolled: 1-line block ×9, first 2 shown]
	v_add_nc_u32_e32 v14, v106, v81
	v_add_nc_u32_e32 v13, v106, v82
	;; [unrolled: 1-line block ×4, first 2 shown]
	v_fma_f64 v[21:22], v[25:26], 2.0, -v[9:10]
	v_fma_f64 v[23:24], v[27:28], 2.0, -v[11:12]
	v_add_f64 v[25:26], v[29:30], -v[59:60]
	v_add_f64 v[27:28], v[31:32], -v[61:62]
	;; [unrolled: 1-line block ×3, first 2 shown]
	v_fma_f64 v[33:34], v[33:34], 2.0, -v[49:50]
	v_fma_f64 v[35:36], v[35:36], 2.0, -v[51:52]
	;; [unrolled: 1-line block ×9, first 2 shown]
	v_add_nc_u32_e32 v5, v106, v83
	v_add_nc_u32_e32 v61, v106, v15
	;; [unrolled: 1-line block ×3, first 2 shown]
	v_lshlrev_b32_e32 v6, 5, v85
	ds_write_b128 v99, v[17:20] offset:2112
	ds_write_b128 v61, v[9:12] offset:5280
	;; [unrolled: 1-line block ×8, first 2 shown]
	v_fma_f64 v[29:30], v[29:30], 2.0, -v[25:26]
	v_fma_f64 v[31:32], v[31:32], 2.0, -v[27:28]
	;; [unrolled: 1-line block ×3, first 2 shown]
	buffer_store_dword v5, off, s[40:43], 0 offset:380 ; 4-byte Folded Spill
	buffer_store_dword v61, off, s[40:43], 0 offset:412 ; 4-byte Folded Spill
	ds_write_b128 v61, v[21:24] offset:4224
	ds_write_b128 v5, v[41:44] offset:12672
	v_lshlrev_b32_e32 v5, 5, v105
	buffer_store_dword v15, off, s[40:43], 0 offset:404 ; 4-byte Folded Spill
	buffer_store_dword v14, off, s[40:43], 0 offset:396 ; 4-byte Folded Spill
	ds_write_b128 v14, v[33:36] offset:8448
	buffer_store_dword v13, off, s[40:43], 0 offset:388 ; 4-byte Folded Spill
	buffer_store_dword v2, off, s[40:43], 0 offset:372 ; 4-byte Folded Spill
	ds_write_b128 v2, v[45:48] offset:14784
	buffer_store_dword v1, off, s[40:43], 0 offset:364 ; 4-byte Folded Spill
	ds_write_b128 v1, v[53:56] offset:16896
	v_sub_nc_u16 v9, v8, v0
	v_lshlrev_b32_e32 v8, 5, v8
	v_lshlrev_b16 v0, 5, v9
	v_and_b32_e32 v9, 0xffff, v9
	ds_write_b128 v15, v[29:32] offset:6336
	ds_write_b128 v13, v[37:40] offset:10560
	s_waitcnt lgkmcnt(0)
	s_waitcnt_vscnt null, 0x0
	s_barrier
	buffer_gl0_inv
	s_clause 0x3
	global_load_dwordx4 v[168:171], v6, s[10:11] offset:2016
	global_load_dwordx4 v[164:167], v6, s[10:11] offset:2032
	;; [unrolled: 1-line block ×4, first 2 shown]
	v_and_b32_e32 v0, 0xffff, v0
	v_lshl_add_u32 v98, v9, 4, v106
	v_add_co_u32 v14, s0, s10, v0
	v_add_co_ci_u32_e64 v15, null, s11, 0, s0
	global_load_dwordx4 v[208:211], v[14:15], off offset:2016
	ds_read_b128 v[0:3], v99 offset:6336
	ds_read_b128 v[10:13], v99 offset:12672
	;; [unrolled: 1-line block ×6, first 2 shown]
	global_load_dwordx4 v[220:223], v[14:15], off offset:2032
	ds_read_b128 v[73:76], v99 offset:5280
	s_waitcnt vmcnt(4) lgkmcnt(5)
	v_mul_f64 v[37:38], v[12:13], v[166:167]
	v_mul_f64 v[39:40], v[10:11], v[166:167]
	v_mul_f64 v[33:34], v[2:3], v[170:171]
	v_mul_f64 v[35:36], v[0:1], v[170:171]
	s_waitcnt vmcnt(3) lgkmcnt(4)
	v_mul_f64 v[41:42], v[19:20], v[162:163]
	v_mul_f64 v[43:44], v[17:18], v[162:163]
	s_waitcnt vmcnt(2) lgkmcnt(3)
	v_mul_f64 v[45:46], v[23:24], v[158:159]
	v_mul_f64 v[47:48], v[21:22], v[158:159]
	v_fma_f64 v[37:38], v[10:11], v[164:165], -v[37:38]
	v_fma_f64 v[39:40], v[12:13], v[164:165], v[39:40]
	s_waitcnt lgkmcnt(2)
	v_mul_f64 v[10:11], v[27:28], v[170:171]
	v_mul_f64 v[12:13], v[25:26], v[170:171]
	v_fma_f64 v[33:34], v[0:1], v[168:169], -v[33:34]
	v_fma_f64 v[35:36], v[2:3], v[168:169], v[35:36]
	ds_read_b128 v[0:3], v99 offset:9504
	v_fma_f64 v[41:42], v[17:18], v[160:161], -v[41:42]
	v_fma_f64 v[43:44], v[19:20], v[160:161], v[43:44]
	s_waitcnt lgkmcnt(2)
	v_mul_f64 v[17:18], v[31:32], v[166:167]
	v_fma_f64 v[45:46], v[21:22], v[156:157], -v[45:46]
	v_mul_f64 v[19:20], v[29:30], v[166:167]
	v_fma_f64 v[47:48], v[23:24], v[156:157], v[47:48]
	v_fma_f64 v[49:50], v[25:26], v[168:169], -v[10:11]
	v_fma_f64 v[51:52], v[27:28], v[168:169], v[12:13]
	ds_read_b128 v[10:13], v99 offset:15840
	s_waitcnt lgkmcnt(1)
	v_mul_f64 v[21:22], v[2:3], v[162:163]
	v_add_f64 v[25:26], v[33:34], -v[37:38]
	v_fma_f64 v[53:54], v[29:30], v[164:165], -v[17:18]
	v_mul_f64 v[17:18], v[0:1], v[162:163]
	v_fma_f64 v[55:56], v[31:32], v[164:165], v[19:20]
	v_add_f64 v[29:30], v[41:42], v[45:46]
	s_waitcnt lgkmcnt(0)
	v_mul_f64 v[19:20], v[12:13], v[158:159]
	v_fma_f64 v[57:58], v[0:1], v[160:161], -v[21:22]
	v_mul_f64 v[0:1], v[10:11], v[158:159]
	v_add_f64 v[21:22], v[35:36], -v[39:40]
	v_fma_f64 v[59:60], v[2:3], v[160:161], v[17:18]
	v_fma_f64 v[61:62], v[10:11], v[156:157], -v[19:20]
	v_fma_f64 v[65:66], v[12:13], v[156:157], v[0:1]
	ds_read_b128 v[10:13], v99 offset:10560
	s_waitcnt vmcnt(1) lgkmcnt(0)
	v_mul_f64 v[0:1], v[12:13], v[210:211]
	v_mul_f64 v[2:3], v[10:11], v[210:211]
	v_fma_f64 v[0:1], v[10:11], v[208:209], -v[0:1]
	v_fma_f64 v[2:3], v[12:13], v[208:209], v[2:3]
	ds_read_b128 v[10:13], v99 offset:16896
	s_waitcnt vmcnt(0) lgkmcnt(0)
	v_mul_f64 v[14:15], v[12:13], v[222:223]
	v_fma_f64 v[14:15], v[10:11], v[220:221], -v[14:15]
	v_mul_f64 v[10:11], v[10:11], v[222:223]
	v_fma_f64 v[69:70], v[12:13], v[220:221], v[10:11]
	v_lshlrev_b16 v10, 5, v7
	v_and_b32_e32 v7, 0xffff, v7
	v_and_b32_e32 v10, 0xffff, v10
	v_lshl_add_u32 v97, v7, 4, v106
	v_add_co_u32 v17, s0, s10, v10
	v_add_co_ci_u32_e64 v18, null, s11, 0, s0
	ds_read_b128 v[10:13], v99 offset:11616
	s_clause 0x1
	global_load_dwordx4 v[224:227], v[17:18], off offset:2016
	global_load_dwordx4 v[244:247], v[17:18], off offset:2032
	v_add_f64 v[71:72], v[2:3], v[69:70]
	s_waitcnt vmcnt(1) lgkmcnt(0)
	v_mul_f64 v[19:20], v[12:13], v[226:227]
	v_fma_f64 v[77:78], v[10:11], v[224:225], -v[19:20]
	v_mul_f64 v[10:11], v[10:11], v[226:227]
	v_fma_f64 v[79:80], v[12:13], v[224:225], v[10:11]
	ds_read_b128 v[10:13], v99 offset:17952
	s_waitcnt vmcnt(0) lgkmcnt(0)
	v_mul_f64 v[17:18], v[12:13], v[246:247]
	v_fma_f64 v[81:82], v[10:11], v[244:245], -v[17:18]
	v_mul_f64 v[10:11], v[10:11], v[246:247]
	v_add_f64 v[17:18], v[33:34], v[37:38]
	v_fma_f64 v[83:84], v[12:13], v[244:245], v[10:11]
	ds_read_b128 v[10:13], v99
	s_waitcnt lgkmcnt(0)
	v_fma_f64 v[19:20], v[17:18], -0.5, v[10:11]
	v_add_f64 v[17:18], v[35:36], v[39:40]
	v_add_f64 v[10:11], v[10:11], v[33:34]
	v_add_f64 v[33:34], v[43:44], -v[47:48]
	v_fma_f64 v[23:24], v[17:18], -0.5, v[12:13]
	v_fma_f64 v[17:18], v[21:22], s[2:3], v[19:20]
	v_fma_f64 v[21:22], v[21:22], s[14:15], v[19:20]
	v_add_f64 v[12:13], v[12:13], v[35:36]
	v_add_f64 v[10:11], v[10:11], v[37:38]
	v_add_f64 v[37:38], v[41:42], -v[45:46]
	v_fma_f64 v[19:20], v[25:26], s[14:15], v[23:24]
	v_fma_f64 v[23:24], v[25:26], s[2:3], v[23:24]
	ds_read_b128 v[25:28], v99 offset:1056
	v_add_f64 v[12:13], v[12:13], v[39:40]
	s_waitcnt lgkmcnt(0)
	v_fma_f64 v[31:32], v[29:30], -0.5, v[25:26]
	v_add_f64 v[29:30], v[43:44], v[47:48]
	v_add_f64 v[25:26], v[25:26], v[41:42]
	;; [unrolled: 1-line block ×3, first 2 shown]
	v_fma_f64 v[35:36], v[29:30], -0.5, v[27:28]
	v_fma_f64 v[29:30], v[33:34], s[2:3], v[31:32]
	v_fma_f64 v[33:34], v[33:34], s[14:15], v[31:32]
	v_add_f64 v[27:28], v[27:28], v[43:44]
	v_add_f64 v[25:26], v[25:26], v[45:46]
	v_add_f64 v[45:46], v[51:52], -v[55:56]
	v_fma_f64 v[31:32], v[37:38], s[14:15], v[35:36]
	v_fma_f64 v[35:36], v[37:38], s[2:3], v[35:36]
	ds_read_b128 v[37:40], v99 offset:2112
	v_add_f64 v[27:28], v[27:28], v[47:48]
	s_waitcnt lgkmcnt(0)
	v_fma_f64 v[43:44], v[41:42], -0.5, v[37:38]
	v_add_f64 v[41:42], v[51:52], v[55:56]
	v_add_f64 v[37:38], v[37:38], v[49:50]
	v_add_f64 v[49:50], v[49:50], -v[53:54]
	v_fma_f64 v[47:48], v[41:42], -0.5, v[39:40]
	v_add_f64 v[39:40], v[39:40], v[51:52]
	v_add_f64 v[37:38], v[37:38], v[53:54]
	v_add_f64 v[53:54], v[57:58], v[61:62]
	v_fma_f64 v[41:42], v[45:46], s[2:3], v[43:44]
	v_fma_f64 v[45:46], v[45:46], s[14:15], v[43:44]
	;; [unrolled: 1-line block ×4, first 2 shown]
	ds_read_b128 v[49:52], v99 offset:3168
	v_add_f64 v[39:40], v[39:40], v[55:56]
	s_waitcnt lgkmcnt(0)
	v_fma_f64 v[55:56], v[53:54], -0.5, v[49:50]
	v_add_f64 v[53:54], v[59:60], v[65:66]
	v_add_f64 v[49:50], v[49:50], v[57:58]
	v_fma_f64 v[67:68], v[53:54], -0.5, v[51:52]
	v_add_f64 v[51:52], v[51:52], v[59:60]
	v_add_f64 v[59:60], v[59:60], -v[65:66]
	v_add_f64 v[49:50], v[49:50], v[61:62]
	v_add_f64 v[61:62], v[57:58], -v[61:62]
	v_add_f64 v[51:52], v[51:52], v[65:66]
	v_fma_f64 v[53:54], v[59:60], s[2:3], v[55:56]
	v_fma_f64 v[57:58], v[59:60], s[14:15], v[55:56]
	v_fma_f64 v[55:56], v[61:62], s[14:15], v[67:68]
	v_fma_f64 v[59:60], v[61:62], s[2:3], v[67:68]
	v_add_f64 v[61:62], v[0:1], v[14:15]
	ds_read_b128 v[65:68], v99 offset:4224
	s_waitcnt lgkmcnt(0)
	s_barrier
	buffer_gl0_inv
	ds_write_b128 v99, v[10:13]
	ds_write_b128 v99, v[25:28] offset:1056
	ds_write_b128 v99, v[37:40] offset:6336
	;; [unrolled: 1-line block ×10, first 2 shown]
	v_add_co_u32 v10, s0, s10, v6
	v_add_co_ci_u32_e64 v11, null, s11, 0, s0
	v_add_co_u32 v6, s0, 0x1800, v10
	v_fma_f64 v[61:62], v[61:62], -0.5, v[65:66]
	v_add_f64 v[65:66], v[65:66], v[0:1]
	v_fma_f64 v[71:72], v[71:72], -0.5, v[67:68]
	v_add_f64 v[67:68], v[67:68], v[2:3]
	v_add_f64 v[2:3], v[2:3], -v[69:70]
	v_add_co_ci_u32_e64 v7, s0, 0, v11, s0
	ds_write_b128 v99, v[57:60] offset:11616
	v_add_f64 v[65:66], v[65:66], v[14:15]
	v_add_f64 v[14:15], v[0:1], -v[14:15]
	v_add_f64 v[67:68], v[67:68], v[69:70]
	v_fma_f64 v[0:1], v[2:3], s[2:3], v[61:62]
	v_fma_f64 v[69:70], v[2:3], s[14:15], v[61:62]
	v_add_f64 v[61:62], v[79:80], v[83:84]
	v_fma_f64 v[2:3], v[14:15], s[14:15], v[71:72]
	v_fma_f64 v[71:72], v[14:15], s[2:3], v[71:72]
	v_add_f64 v[14:15], v[77:78], v[81:82]
	v_fma_f64 v[61:62], v[61:62], -0.5, v[75:76]
	v_add_f64 v[75:76], v[75:76], v[79:80]
	v_add_f64 v[79:80], v[79:80], -v[83:84]
	v_fma_f64 v[14:15], v[14:15], -0.5, v[73:74]
	v_add_f64 v[73:74], v[73:74], v[77:78]
	v_add_f64 v[75:76], v[75:76], v[83:84]
	v_add_f64 v[83:84], v[77:78], -v[81:82]
	v_fma_f64 v[77:78], v[79:80], s[2:3], v[14:15]
	v_add_f64 v[73:74], v[73:74], v[81:82]
	v_fma_f64 v[81:82], v[79:80], s[14:15], v[14:15]
	v_fma_f64 v[79:80], v[83:84], s[14:15], v[61:62]
	;; [unrolled: 1-line block ×3, first 2 shown]
	ds_write_b128 v98, v[65:68] offset:12672
	ds_write_b128 v98, v[0:3] offset:14784
	;; [unrolled: 1-line block ×6, first 2 shown]
	v_add_co_u32 v0, s0, 0x1860, v10
	v_add_co_ci_u32_e64 v1, s0, 0, v11, s0
	s_waitcnt lgkmcnt(0)
	s_barrier
	buffer_gl0_inv
	s_clause 0x1
	global_load_dwordx4 v[228:231], v[6:7], off offset:96
	global_load_dwordx4 v[232:235], v[0:1], off offset:16
	v_add_co_u32 v7, s0, s10, v5
	v_add_co_ci_u32_e64 v15, null, s11, 0, s0
	v_add_co_u32 v0, s0, 0x1800, v7
	v_add_co_ci_u32_e64 v1, s0, 0, v15, s0
	global_load_dwordx4 v[236:239], v[0:1], off offset:96
	ds_read_b128 v[0:3], v99 offset:6336
	ds_read_b128 v[9:12], v99 offset:12672
	s_waitcnt vmcnt(2) lgkmcnt(1)
	v_mul_f64 v[5:6], v[2:3], v[230:231]
	s_waitcnt vmcnt(1) lgkmcnt(0)
	v_mul_f64 v[19:20], v[9:10], v[234:235]
	v_mul_f64 v[17:18], v[11:12], v[234:235]
	;; [unrolled: 1-line block ×3, first 2 shown]
	v_fma_f64 v[32:33], v[0:1], v[228:229], -v[5:6]
	v_fma_f64 v[38:39], v[11:12], v[232:233], v[19:20]
	v_add_co_u32 v11, s0, 0x1860, v7
	v_add_co_ci_u32_e64 v12, s0, 0, v15, s0
	v_fma_f64 v[36:37], v[2:3], v[228:229], v[13:14]
	ds_read_b128 v[0:3], v99 offset:7392
	v_fma_f64 v[34:35], v[9:10], v[232:233], -v[17:18]
	global_load_dwordx4 v[240:243], v[11:12], off offset:16
	s_waitcnt vmcnt(1) lgkmcnt(0)
	v_mul_f64 v[5:6], v[2:3], v[238:239]
	v_mul_f64 v[9:10], v[0:1], v[238:239]
	v_add_f64 v[71:72], v[36:37], v[38:39]
	v_add_f64 v[73:74], v[36:37], -v[38:39]
	v_fma_f64 v[24:25], v[0:1], v[236:237], -v[5:6]
	v_fma_f64 v[26:27], v[2:3], v[236:237], v[9:10]
	ds_read_b128 v[0:3], v99 offset:13728
	ds_read_b128 v[9:12], v99 offset:8448
	s_waitcnt vmcnt(0) lgkmcnt(1)
	v_mul_f64 v[5:6], v[2:3], v[242:243]
	v_fma_f64 v[28:29], v[0:1], v[240:241], -v[5:6]
	v_mul_f64 v[0:1], v[0:1], v[242:243]
	v_fma_f64 v[30:31], v[2:3], v[240:241], v[0:1]
	v_lshlrev_b32_e32 v0, 5, v104
	v_add_co_u32 v7, s0, s10, v0
	v_add_co_ci_u32_e64 v13, null, s11, 0, s0
	v_add_co_u32 v0, s0, 0x1800, v7
	v_add_co_ci_u32_e64 v1, s0, 0, v13, s0
	global_load_dwordx4 v[0:3], v[0:1], off offset:96
	v_add_f64 v[75:76], v[26:27], v[30:31]
	s_waitcnt vmcnt(0) lgkmcnt(0)
	v_mul_f64 v[5:6], v[11:12], v[2:3]
	v_fma_f64 v[44:45], v[9:10], v[0:1], -v[5:6]
	v_mul_f64 v[5:6], v[9:10], v[2:3]
	v_fma_f64 v[46:47], v[11:12], v[0:1], v[5:6]
	v_add_co_u32 v5, s0, 0x1860, v7
	v_add_co_ci_u32_e64 v6, s0, 0, v13, s0
	ds_read_b128 v[9:12], v99 offset:14784
	global_load_dwordx4 v[252:255], v[5:6], off offset:16
	s_waitcnt vmcnt(0) lgkmcnt(0)
	v_mul_f64 v[5:6], v[11:12], v[254:255]
	v_fma_f64 v[48:49], v[9:10], v[252:253], -v[5:6]
	v_mul_f64 v[5:6], v[9:10], v[254:255]
	v_add_f64 v[77:78], v[44:45], v[48:49]
	v_fma_f64 v[50:51], v[11:12], v[252:253], v[5:6]
	v_add_co_u32 v11, s0, s10, v4
	v_add_co_ci_u32_e64 v12, null, s11, 0, s0
	v_add_co_u32 v4, s0, 0x1800, v11
	v_add_co_ci_u32_e64 v5, s0, 0, v12, s0
	global_load_dwordx4 v[248:251], v[4:5], off offset:96
	ds_read_b128 v[4:7], v99 offset:9504
	v_add_f64 v[79:80], v[46:47], v[50:51]
	s_waitcnt vmcnt(0) lgkmcnt(0)
	v_mul_f64 v[9:10], v[6:7], v[250:251]
	v_fma_f64 v[40:41], v[4:5], v[248:249], -v[9:10]
	v_mul_f64 v[4:5], v[4:5], v[250:251]
	v_fma_f64 v[42:43], v[6:7], v[248:249], v[4:5]
	v_add_co_u32 v4, s0, 0x1860, v11
	v_add_co_ci_u32_e64 v5, s0, 0, v12, s0
	ds_read_b128 v[9:12], v99 offset:15840
	v_add_co_u32 v19, s0, s10, v8
	global_load_dwordx4 v[4:7], v[4:5], off offset:16
	v_add_co_ci_u32_e64 v20, null, s11, 0, s0
	v_add_co_u32 v8, s0, 0x1800, v19
	s_waitcnt vmcnt(0) lgkmcnt(0)
	v_mul_f64 v[13:14], v[11:12], v[6:7]
	v_fma_f64 v[52:53], v[9:10], v[4:5], -v[13:14]
	v_mul_f64 v[9:10], v[9:10], v[6:7]
	v_add_f64 v[81:82], v[40:41], v[52:53]
	v_fma_f64 v[54:55], v[11:12], v[4:5], v[9:10]
	v_add_co_ci_u32_e64 v9, s0, 0, v20, s0
	ds_read_b128 v[12:15], v99 offset:10560
	global_load_dwordx4 v[8:11], v[8:9], off offset:96
	v_add_f64 v[83:84], v[42:43], v[54:55]
	s_waitcnt vmcnt(0) lgkmcnt(0)
	v_mul_f64 v[17:18], v[14:15], v[10:11]
	v_fma_f64 v[56:57], v[12:13], v[8:9], -v[17:18]
	v_mul_f64 v[12:13], v[12:13], v[10:11]
	v_fma_f64 v[58:59], v[14:15], v[8:9], v[12:13]
	v_add_co_u32 v12, s0, 0x1860, v19
	v_add_co_ci_u32_e64 v13, s0, 0, v20, s0
	ds_read_b128 v[17:20], v99 offset:16896
	v_add_co_u32 v67, s0, s10, v16
	global_load_dwordx4 v[12:15], v[12:13], off offset:16
	v_add_co_ci_u32_e64 v68, null, s11, 0, s0
	v_add_co_u32 v16, s0, 0x1800, v67
	s_waitcnt vmcnt(0) lgkmcnt(0)
	v_mul_f64 v[21:22], v[19:20], v[14:15]
	v_fma_f64 v[60:61], v[17:18], v[12:13], -v[21:22]
	v_mul_f64 v[17:18], v[17:18], v[14:15]
	v_add_f64 v[85:86], v[56:57], v[60:61]
	v_fma_f64 v[62:63], v[19:20], v[12:13], v[17:18]
	v_add_co_ci_u32_e64 v17, s0, 0, v68, s0
	ds_read_b128 v[20:23], v99 offset:11616
	global_load_dwordx4 v[16:19], v[16:17], off offset:96
	v_add_f64 v[87:88], v[58:59], v[62:63]
	s_waitcnt vmcnt(0) lgkmcnt(0)
	v_mul_f64 v[65:66], v[22:23], v[18:19]
	v_fma_f64 v[89:90], v[20:21], v[16:17], -v[65:66]
	v_mul_f64 v[20:21], v[20:21], v[18:19]
	v_fma_f64 v[91:92], v[22:23], v[16:17], v[20:21]
	v_add_co_u32 v20, s0, 0x1860, v67
	v_add_co_ci_u32_e64 v21, s0, 0, v68, s0
	ds_read_b128 v[65:68], v99 offset:17952
	global_load_dwordx4 v[20:23], v[20:21], off offset:16
	s_waitcnt vmcnt(0) lgkmcnt(0)
	v_mul_f64 v[69:70], v[67:68], v[22:23]
	v_fma_f64 v[93:94], v[65:66], v[20:21], -v[69:70]
	v_mul_f64 v[65:66], v[65:66], v[22:23]
	v_add_f64 v[69:70], v[32:33], v[34:35]
	v_add_f64 v[106:107], v[89:90], v[93:94]
	v_fma_f64 v[104:105], v[67:68], v[20:21], v[65:66]
	ds_read_b128 v[65:68], v99
	s_waitcnt lgkmcnt(0)
	v_fma_f64 v[71:72], v[71:72], -0.5, v[67:68]
	v_add_f64 v[67:68], v[67:68], v[36:37]
	v_fma_f64 v[69:70], v[69:70], -0.5, v[65:66]
	v_add_f64 v[65:66], v[65:66], v[32:33]
	v_add_f64 v[108:109], v[91:92], v[104:105]
	;; [unrolled: 1-line block ×3, first 2 shown]
	v_add_f64 v[67:68], v[32:33], -v[34:35]
	v_add_f64 v[36:37], v[65:66], v[34:35]
	v_fma_f64 v[32:33], v[73:74], s[2:3], v[69:70]
	v_fma_f64 v[65:66], v[73:74], s[14:15], v[69:70]
	v_add_f64 v[73:74], v[24:25], v[28:29]
	v_fma_f64 v[34:35], v[67:68], s[14:15], v[71:72]
	v_fma_f64 v[67:68], v[67:68], s[2:3], v[71:72]
	ds_read_b128 v[69:72], v99 offset:1056
	s_waitcnt lgkmcnt(0)
	v_fma_f64 v[75:76], v[75:76], -0.5, v[71:72]
	v_add_f64 v[71:72], v[71:72], v[26:27]
	v_fma_f64 v[73:74], v[73:74], -0.5, v[69:70]
	v_add_f64 v[69:70], v[69:70], v[24:25]
	v_add_f64 v[26:27], v[26:27], -v[30:31]
	v_add_f64 v[71:72], v[71:72], v[30:31]
	v_add_f64 v[30:31], v[24:25], -v[28:29]
	v_add_f64 v[69:70], v[69:70], v[28:29]
	v_fma_f64 v[24:25], v[26:27], s[2:3], v[73:74]
	v_fma_f64 v[28:29], v[26:27], s[14:15], v[73:74]
	v_fma_f64 v[26:27], v[30:31], s[14:15], v[75:76]
	v_fma_f64 v[30:31], v[30:31], s[2:3], v[75:76]
	ds_read_b128 v[73:76], v99 offset:2112
	s_waitcnt lgkmcnt(0)
	v_fma_f64 v[79:80], v[79:80], -0.5, v[75:76]
	v_add_f64 v[75:76], v[75:76], v[46:47]
	v_fma_f64 v[77:78], v[77:78], -0.5, v[73:74]
	v_add_f64 v[73:74], v[73:74], v[44:45]
	v_add_f64 v[46:47], v[46:47], -v[50:51]
	v_add_f64 v[75:76], v[75:76], v[50:51]
	v_add_f64 v[50:51], v[44:45], -v[48:49]
	v_add_f64 v[73:74], v[73:74], v[48:49]
	v_fma_f64 v[44:45], v[46:47], s[2:3], v[77:78]
	v_fma_f64 v[48:49], v[46:47], s[14:15], v[77:78]
	;; [unrolled: 14-line block ×4, first 2 shown]
	v_fma_f64 v[58:59], v[62:63], s[14:15], v[87:88]
	v_fma_f64 v[62:63], v[62:63], s[2:3], v[87:88]
	ds_read_b128 v[85:88], v99 offset:5280
	s_waitcnt lgkmcnt(0)
	v_fma_f64 v[106:107], v[106:107], -0.5, v[85:86]
	v_fma_f64 v[108:109], v[108:109], -0.5, v[87:88]
	v_add_f64 v[87:88], v[87:88], v[91:92]
	v_add_f64 v[85:86], v[85:86], v[89:90]
	v_add_f64 v[91:92], v[91:92], -v[104:105]
	v_add_f64 v[87:88], v[87:88], v[104:105]
	v_add_f64 v[85:86], v[85:86], v[93:94]
	ds_write_b128 v99, v[36:39]
	ds_write_b128 v99, v[69:72] offset:1056
	ds_write_b128 v99, v[73:76] offset:2112
	;; [unrolled: 1-line block ×9, first 2 shown]
	buffer_load_dword v24, off, s[40:43], 0 offset:420 ; 4-byte Folded Reload
	v_add_f64 v[93:94], v[89:90], -v[93:94]
	v_fma_f64 v[89:90], v[91:92], s[2:3], v[106:107]
	v_fma_f64 v[106:107], v[91:92], s[14:15], v[106:107]
	v_add_co_u32 v76, s0, s8, v64
	v_add_co_ci_u32_e64 v77, null, s9, 0, s0
	v_fma_f64 v[91:92], v[93:94], s[14:15], v[108:109]
	v_fma_f64 v[108:109], v[93:94], s[2:3], v[108:109]
	s_waitcnt vmcnt(0)
	v_lshl_add_u32 v105, v200, 4, v24
	v_add_co_u32 v24, s0, 0x4800, v76
	v_add_co_ci_u32_e64 v25, s0, 0, v77, s0
	ds_write_b128 v105, v[44:47] offset:8448
	ds_write_b128 v105, v[48:51] offset:14784
	;; [unrolled: 1-line block ×8, first 2 shown]
	s_waitcnt lgkmcnt(0)
	s_barrier
	buffer_gl0_inv
	global_load_dwordx4 v[26:29], v[24:25], off offset:576
	ds_read_b128 v[30:33], v99
	ds_read_b128 v[54:57], v99 offset:1056
	v_add_co_u32 v74, s0, 0x5000, v76
	v_add_co_ci_u32_e64 v75, s0, 0, v77, s0
	ds_read_b128 v[34:37], v99 offset:3168
	ds_read_b128 v[58:61], v99 offset:4224
	v_add_co_u32 v62, s0, 0x6000, v76
	v_add_co_ci_u32_e64 v63, s0, 0, v77, s0
	ds_read_b128 v[38:41], v99 offset:6336
	ds_read_b128 v[42:45], v99 offset:9504
	v_add_co_u32 v72, s0, 0x6800, v76
	v_add_co_ci_u32_e64 v73, s0, 0, v77, s0
	v_add_co_u32 v70, s0, 0x7800, v76
	v_add_co_ci_u32_e64 v71, s0, 0, v77, s0
	ds_read_b128 v[46:49], v99 offset:12672
	ds_read_b128 v[78:81], v99 offset:13728
	v_add_co_u32 v82, s0, 0x8800, v76
	v_add_co_ci_u32_e64 v83, s0, 0, v77, s0
	ds_read_b128 v[50:53], v99 offset:15840
	ds_read_b128 v[66:69], v99 offset:10560
	;; [unrolled: 1-line block ×4, first 2 shown]
	s_waitcnt vmcnt(0) lgkmcnt(11)
	v_mul_f64 v[24:25], v[32:33], v[28:29]
	v_mul_f64 v[28:29], v[30:31], v[28:29]
	v_fma_f64 v[24:25], v[30:31], v[26:27], -v[24:25]
	v_fma_f64 v[26:27], v[32:33], v[26:27], v[28:29]
	global_load_dwordx4 v[30:33], v[74:75], off offset:1696
	s_waitcnt vmcnt(0) lgkmcnt(9)
	v_mul_f64 v[28:29], v[36:37], v[32:33]
	v_mul_f64 v[32:33], v[34:35], v[32:33]
	v_fma_f64 v[28:29], v[34:35], v[30:31], -v[28:29]
	v_fma_f64 v[30:31], v[36:37], v[30:31], v[32:33]
	global_load_dwordx4 v[34:37], v[62:63], off offset:768
	;; [unrolled: 6-line block ×5, first 2 shown]
	s_waitcnt vmcnt(0) lgkmcnt(3)
	v_mul_f64 v[44:45], v[52:53], v[48:49]
	v_mul_f64 v[48:49], v[50:51], v[48:49]
	v_fma_f64 v[44:45], v[50:51], v[46:47], -v[44:45]
	v_fma_f64 v[46:47], v[52:53], v[46:47], v[48:49]
	v_add_co_u32 v48, s0, 0x4a40, v76
	v_add_co_ci_u32_e64 v49, s0, 0, v77, s0
	v_add_co_u32 v86, s0, 0x5800, v76
	v_add_co_ci_u32_e64 v87, s0, 0, v77, s0
	global_load_dwordx4 v[50:53], v[48:49], off offset:1056
	v_add_co_u32 v94, s0, 0x7000, v76
	v_add_co_ci_u32_e64 v95, s0, 0, v77, s0
	s_waitcnt vmcnt(0)
	v_mul_f64 v[48:49], v[56:57], v[52:53]
	v_mul_f64 v[52:53], v[54:55], v[52:53]
	v_fma_f64 v[48:49], v[54:55], v[50:51], -v[48:49]
	v_fma_f64 v[50:51], v[56:57], v[50:51], v[52:53]
	global_load_dwordx4 v[54:57], v[86:87], off offset:704
	s_waitcnt vmcnt(0)
	v_mul_f64 v[52:53], v[60:61], v[56:57]
	v_mul_f64 v[56:57], v[58:59], v[56:57]
	v_fma_f64 v[52:53], v[58:59], v[54:55], -v[52:53]
	v_fma_f64 v[54:55], v[60:61], v[54:55], v[56:57]
	global_load_dwordx4 v[58:61], v[62:63], off offset:1824
	ds_read_b128 v[62:65], v99 offset:7392
	s_waitcnt vmcnt(0) lgkmcnt(0)
	v_mul_f64 v[56:57], v[64:65], v[60:61]
	v_mul_f64 v[60:61], v[62:63], v[60:61]
	v_fma_f64 v[56:57], v[62:63], v[58:59], -v[56:57]
	v_fma_f64 v[58:59], v[64:65], v[58:59], v[60:61]
	global_load_dwordx4 v[62:65], v[94:95], off offset:896
	s_waitcnt vmcnt(0)
	v_mul_f64 v[60:61], v[68:69], v[64:65]
	v_mul_f64 v[64:65], v[66:67], v[64:65]
	v_fma_f64 v[60:61], v[66:67], v[62:63], -v[60:61]
	v_fma_f64 v[62:63], v[68:69], v[62:63], v[64:65]
	global_load_dwordx4 v[66:69], v[70:71], off offset:2016
	s_waitcnt vmcnt(0)
	v_mul_f64 v[64:65], v[80:81], v[68:69]
	v_mul_f64 v[68:69], v[78:79], v[68:69]
	v_fma_f64 v[64:65], v[78:79], v[66:67], -v[64:65]
	v_fma_f64 v[66:67], v[80:81], v[66:67], v[68:69]
	global_load_dwordx4 v[78:81], v[82:83], off offset:1088
	ds_read_b128 v[68:71], v99 offset:16896
	s_waitcnt vmcnt(0) lgkmcnt(0)
	v_mul_f64 v[82:83], v[70:71], v[80:81]
	v_mul_f64 v[80:81], v[68:69], v[80:81]
	v_fma_f64 v[68:69], v[68:69], v[78:79], -v[82:83]
	v_fma_f64 v[70:71], v[70:71], v[78:79], v[80:81]
	global_load_dwordx4 v[78:81], v[74:75], off offset:640
	ds_read_b128 v[82:85], v99 offset:2112
	s_waitcnt vmcnt(0) lgkmcnt(0)
	;; [unrolled: 7-line block ×3, first 2 shown]
	v_mul_f64 v[74:75], v[90:91], v[86:87]
	v_mul_f64 v[78:79], v[88:89], v[86:87]
	v_fma_f64 v[86:87], v[88:89], v[84:85], -v[74:75]
	global_load_dwordx4 v[72:75], v[72:73], off offset:832
	v_fma_f64 v[88:89], v[90:91], v[84:85], v[78:79]
	ds_read_b128 v[90:93], v99 offset:8448
	s_waitcnt vmcnt(0) lgkmcnt(0)
	v_mul_f64 v[78:79], v[92:93], v[74:75]
	v_mul_f64 v[74:75], v[90:91], v[74:75]
	v_fma_f64 v[90:91], v[90:91], v[72:73], -v[78:79]
	v_fma_f64 v[92:93], v[92:93], v[72:73], v[74:75]
	global_load_dwordx4 v[72:75], v[94:95], off offset:1952
	s_waitcnt vmcnt(0)
	v_mul_f64 v[78:79], v[108:109], v[74:75]
	v_mul_f64 v[74:75], v[106:107], v[74:75]
	v_fma_f64 v[106:107], v[106:107], v[72:73], -v[78:79]
	v_fma_f64 v[108:109], v[108:109], v[72:73], v[74:75]
	v_add_co_u32 v72, s0, 0x8000, v76
	v_add_co_ci_u32_e64 v73, s0, 0, v77, s0
	global_load_dwordx4 v[72:75], v[72:73], off offset:1024
	s_waitcnt vmcnt(0)
	v_mul_f64 v[78:79], v[202:203], v[74:75]
	v_mul_f64 v[74:75], v[200:201], v[74:75]
	v_fma_f64 v[200:201], v[200:201], v[72:73], -v[78:79]
	v_fma_f64 v[202:203], v[202:203], v[72:73], v[74:75]
	v_add_co_u32 v72, s0, 0x9000, v76
	v_add_co_ci_u32_e64 v73, s0, 0, v77, s0
	ds_read_b128 v[76:79], v99 offset:17952
	global_load_dwordx4 v[72:75], v[72:73], off offset:96
	s_waitcnt vmcnt(0) lgkmcnt(0)
	v_mul_f64 v[84:85], v[78:79], v[74:75]
	v_mul_f64 v[94:95], v[76:77], v[74:75]
	v_fma_f64 v[74:75], v[76:77], v[72:73], -v[84:85]
	v_fma_f64 v[76:77], v[78:79], v[72:73], v[94:95]
	ds_write_b128 v99, v[24:27]
	ds_write_b128 v99, v[28:31] offset:3168
	ds_write_b128 v99, v[32:35] offset:6336
	;; [unrolled: 1-line block ×17, first 2 shown]
	s_waitcnt lgkmcnt(0)
	s_barrier
	buffer_gl0_inv
	ds_read_b128 v[24:27], v99
	ds_read_b128 v[28:31], v99 offset:6336
	ds_read_b128 v[32:35], v99 offset:12672
	s_waitcnt lgkmcnt(1)
	v_add_f64 v[36:37], v[24:25], v[28:29]
	v_add_f64 v[38:39], v[26:27], v[30:31]
	s_waitcnt lgkmcnt(0)
	v_add_f64 v[40:41], v[28:29], v[32:33]
	v_add_f64 v[44:45], v[30:31], -v[34:35]
	v_add_f64 v[42:43], v[30:31], v[34:35]
	v_add_f64 v[46:47], v[28:29], -v[32:33]
	v_add_f64 v[48:49], v[36:37], v[32:33]
	v_add_f64 v[50:51], v[38:39], v[34:35]
	ds_read_b128 v[28:31], v99 offset:3168
	ds_read_b128 v[32:35], v99 offset:9504
	;; [unrolled: 1-line block ×3, first 2 shown]
	s_waitcnt lgkmcnt(1)
	v_add_f64 v[52:53], v[28:29], v[32:33]
	s_waitcnt lgkmcnt(0)
	v_add_f64 v[56:57], v[34:35], v[38:39]
	v_add_f64 v[54:55], v[30:31], v[34:35]
	v_add_f64 v[58:59], v[32:33], v[36:37]
	v_add_f64 v[62:63], v[32:33], -v[36:37]
	v_add_f64 v[60:61], v[34:35], -v[38:39]
	v_add_f64 v[32:33], v[52:53], v[36:37]
	v_fma_f64 v[52:53], v[56:57], -0.5, v[30:31]
	v_add_f64 v[34:35], v[54:55], v[38:39]
	v_fma_f64 v[54:55], v[58:59], -0.5, v[28:29]
	v_fma_f64 v[36:37], v[40:41], -0.5, v[24:25]
	;; [unrolled: 1-line block ×3, first 2 shown]
	v_add_f64 v[40:41], v[48:49], v[32:33]
	v_fma_f64 v[28:29], v[62:63], s[2:3], v[52:53]
	v_add_f64 v[24:25], v[48:49], -v[32:33]
	v_fma_f64 v[32:33], v[60:61], s[14:15], v[54:55]
	v_add_f64 v[42:43], v[50:51], v[34:35]
	v_add_f64 v[26:27], v[50:51], -v[34:35]
	v_fma_f64 v[50:51], v[46:47], s[2:3], v[38:39]
	v_fma_f64 v[38:39], v[46:47], s[14:15], v[38:39]
	v_mul_f64 v[30:31], v[28:29], s[14:15]
	v_mul_f64 v[28:29], v[28:29], 0.5
	v_fma_f64 v[30:31], v[32:33], 0.5, v[30:31]
	v_fma_f64 v[48:49], v[32:33], s[2:3], v[28:29]
	v_fma_f64 v[28:29], v[44:45], s[14:15], v[36:37]
	;; [unrolled: 1-line block ×4, first 2 shown]
	v_add_f64 v[34:35], v[50:51], v[48:49]
	v_add_f64 v[32:33], v[28:29], v[30:31]
	v_add_f64 v[28:29], v[28:29], -v[30:31]
	v_add_f64 v[30:31], v[50:51], -v[48:49]
	v_fma_f64 v[48:49], v[62:63], s[14:15], v[52:53]
	v_mul_f64 v[46:47], v[48:49], s[14:15]
	v_mul_f64 v[48:49], v[48:49], -0.5
	v_fma_f64 v[50:51], v[44:45], -0.5, v[46:47]
	v_fma_f64 v[48:49], v[44:45], s[2:3], v[48:49]
	v_add_f64 v[44:45], v[36:37], v[50:51]
	v_add_f64 v[46:47], v[38:39], v[48:49]
	v_add_f64 v[36:37], v[36:37], -v[50:51]
	v_add_f64 v[38:39], v[38:39], -v[48:49]
	ds_read_b128 v[48:51], v99 offset:1056
	ds_read_b128 v[56:59], v99 offset:7392
	ds_read_b128 v[52:55], v99 offset:4224
	ds_read_b128 v[60:63], v99 offset:10560
	ds_read_b128 v[64:67], v99 offset:13728
	ds_read_b128 v[68:71], v99 offset:16896
	ds_read_b128 v[72:75], v99 offset:2112
	ds_read_b128 v[76:79], v99 offset:5280
	ds_read_b128 v[80:83], v99 offset:8448
	ds_read_b128 v[84:87], v99 offset:11616
	ds_read_b128 v[88:91], v99 offset:14784
	ds_read_b128 v[92:95], v99 offset:17952
	s_waitcnt lgkmcnt(0)
	s_barrier
	buffer_gl0_inv
	buffer_load_dword v100, off, s[40:43], 0 offset:432 ; 4-byte Folded Reload
	s_waitcnt vmcnt(0)
	ds_write_b128 v100, v[40:43]
	ds_write_b128 v100, v[24:27] offset:48
	ds_write_b128 v100, v[32:35] offset:16
	;; [unrolled: 1-line block ×5, first 2 shown]
	v_add_f64 v[24:25], v[48:49], v[56:57]
	v_add_f64 v[26:27], v[50:51], v[58:59]
	;; [unrolled: 1-line block ×3, first 2 shown]
	v_add_f64 v[32:33], v[58:59], -v[66:67]
	v_add_f64 v[30:31], v[58:59], v[66:67]
	v_add_f64 v[34:35], v[56:57], -v[64:65]
	v_add_f64 v[36:37], v[52:53], v[60:61]
	v_add_f64 v[42:43], v[62:63], v[70:71]
	;; [unrolled: 1-line block ×6, first 2 shown]
	v_add_f64 v[44:45], v[62:63], -v[70:71]
	v_add_f64 v[46:47], v[60:61], -v[68:69]
	;; [unrolled: 1-line block ×3, first 2 shown]
	v_add_f64 v[62:63], v[82:83], v[90:91]
	v_add_f64 v[82:83], v[86:87], -v[94:95]
	v_add_f64 v[60:61], v[80:81], v[88:89]
	v_add_f64 v[80:81], v[80:81], -v[88:89]
	v_add_f64 v[24:25], v[24:25], v[64:65]
	v_add_f64 v[26:27], v[26:27], v[66:67]
	v_fma_f64 v[48:49], v[28:29], -0.5, v[48:49]
	v_fma_f64 v[50:51], v[30:31], -0.5, v[50:51]
	v_add_f64 v[36:37], v[36:37], v[68:69]
	v_add_f64 v[68:69], v[84:85], v[92:93]
	;; [unrolled: 1-line block ×5, first 2 shown]
	v_fma_f64 v[90:91], v[42:43], -0.5, v[54:55]
	v_add_f64 v[38:39], v[38:39], v[70:71]
	v_add_f64 v[58:59], v[78:79], v[86:87]
	v_add_f64 v[70:71], v[86:87], v[94:95]
	v_add_f64 v[84:85], v[84:85], -v[92:93]
	v_fma_f64 v[74:75], v[62:63], -0.5, v[74:75]
	v_fma_f64 v[72:73], v[60:61], -0.5, v[72:73]
	;; [unrolled: 1-line block ×3, first 2 shown]
	v_add_f64 v[86:87], v[56:57], v[92:93]
	v_fma_f64 v[92:93], v[40:41], -0.5, v[52:53]
	v_add_f64 v[52:53], v[24:25], v[36:37]
	v_add_f64 v[56:57], v[24:25], -v[36:37]
	v_fma_f64 v[24:25], v[46:47], s[2:3], v[90:91]
	v_add_f64 v[88:89], v[58:59], v[94:95]
	v_add_f64 v[54:55], v[26:27], v[38:39]
	v_add_f64 v[58:59], v[26:27], -v[38:39]
	v_fma_f64 v[38:39], v[34:35], s[2:3], v[50:51]
	v_fma_f64 v[78:79], v[70:71], -0.5, v[78:79]
	v_add_f64 v[40:41], v[64:65], v[86:87]
	v_fma_f64 v[36:37], v[44:45], s[14:15], v[92:93]
	v_add_f64 v[28:29], v[64:65], -v[86:87]
	v_mul_f64 v[26:27], v[24:25], s[14:15]
	v_mul_f64 v[24:25], v[24:25], 0.5
	v_add_f64 v[42:43], v[66:67], v[88:89]
	v_add_f64 v[30:31], v[66:67], -v[88:89]
	v_fma_f64 v[26:27], v[36:37], 0.5, v[26:27]
	v_fma_f64 v[24:25], v[36:37], s[2:3], v[24:25]
	v_fma_f64 v[36:37], v[32:33], s[14:15], v[48:49]
	v_add_f64 v[62:63], v[38:39], v[24:25]
	v_add_f64 v[66:67], v[38:39], -v[24:25]
	v_fma_f64 v[24:25], v[46:47], s[14:15], v[90:91]
	v_add_f64 v[60:61], v[36:37], v[26:27]
	v_add_f64 v[64:65], v[36:37], -v[26:27]
	v_fma_f64 v[26:27], v[32:33], s[2:3], v[48:49]
	v_fma_f64 v[32:33], v[34:35], s[14:15], v[50:51]
	;; [unrolled: 1-line block ×5, first 2 shown]
	v_mul_f64 v[36:37], v[24:25], s[14:15]
	v_mul_f64 v[24:25], v[24:25], -0.5
	v_fma_f64 v[36:37], v[34:35], -0.5, v[36:37]
	v_fma_f64 v[34:35], v[34:35], s[2:3], v[24:25]
	v_add_f64 v[68:69], v[26:27], v[36:37]
	v_add_f64 v[70:71], v[32:33], v[34:35]
	v_add_f64 v[24:25], v[26:27], -v[36:37]
	v_add_f64 v[26:27], v[32:33], -v[34:35]
	v_fma_f64 v[32:33], v[84:85], s[2:3], v[78:79]
	v_fma_f64 v[36:37], v[82:83], s[14:15], v[76:77]
	v_mul_f64 v[34:35], v[32:33], s[14:15]
	v_mul_f64 v[32:33], v[32:33], 0.5
	v_fma_f64 v[34:35], v[36:37], 0.5, v[34:35]
	v_fma_f64 v[36:37], v[36:37], s[2:3], v[32:33]
	v_fma_f64 v[32:33], v[106:107], s[14:15], v[72:73]
	v_add_f64 v[46:47], v[38:39], v[36:37]
	v_add_f64 v[44:45], v[32:33], v[34:35]
	v_add_f64 v[32:33], v[32:33], -v[34:35]
	v_add_f64 v[34:35], v[38:39], -v[36:37]
	v_fma_f64 v[36:37], v[84:85], s[14:15], v[78:79]
	v_fma_f64 v[38:39], v[106:107], s[2:3], v[72:73]
	;; [unrolled: 1-line block ×3, first 2 shown]
	v_mul_f64 v[50:51], v[36:37], s[14:15]
	v_mul_f64 v[36:37], v[36:37], -0.5
	v_fma_f64 v[74:75], v[48:49], -0.5, v[50:51]
	v_fma_f64 v[76:77], v[48:49], s[2:3], v[36:37]
	v_add_f64 v[48:49], v[38:39], v[74:75]
	v_add_f64 v[50:51], v[72:73], v[76:77]
	v_add_f64 v[36:37], v[38:39], -v[74:75]
	v_add_f64 v[38:39], v[72:73], -v[76:77]
	buffer_load_dword v72, off, s[40:43], 0 offset:428 ; 4-byte Folded Reload
	s_waitcnt vmcnt(0)
	ds_write_b128 v72, v[52:55]
	ds_write_b128 v72, v[60:63] offset:16
	ds_write_b128 v72, v[68:71] offset:32
	;; [unrolled: 1-line block ×5, first 2 shown]
	ds_write_b128 v102, v[40:43]
	ds_write_b128 v102, v[44:47] offset:16
	ds_write_b128 v102, v[48:51] offset:32
	ds_write_b128 v102, v[28:31] offset:48
	ds_write_b128 v102, v[32:35] offset:64
	ds_write_b128 v102, v[36:39] offset:80
	s_waitcnt lgkmcnt(0)
	s_barrier
	buffer_gl0_inv
	ds_read_b128 v[52:55], v99
	ds_read_b128 v[92:95], v99 offset:1728
	ds_read_b128 v[88:91], v99 offset:3456
	;; [unrolled: 1-line block ×10, first 2 shown]
	s_and_saveexec_b32 s0, vcc_lo
	s_cbranch_execz .LBB0_7
; %bb.6:
	ds_read_b128 v[24:27], v99 offset:1056
	ds_read_b128 v[40:43], v99 offset:2784
	;; [unrolled: 1-line block ×8, first 2 shown]
	s_waitcnt lgkmcnt(0)
	buffer_store_dword v106, off, s[40:43], 0 offset:52 ; 4-byte Folded Spill
	buffer_store_dword v107, off, s[40:43], 0 offset:56 ; 4-byte Folded Spill
	buffer_store_dword v108, off, s[40:43], 0 offset:60 ; 4-byte Folded Spill
	buffer_store_dword v109, off, s[40:43], 0 offset:64 ; 4-byte Folded Spill
	ds_read_b128 v[106:109], v99 offset:14880
	s_waitcnt lgkmcnt(0)
	buffer_store_dword v106, off, s[40:43], 0 offset:36 ; 4-byte Folded Spill
	buffer_store_dword v107, off, s[40:43], 0 offset:40 ; 4-byte Folded Spill
	buffer_store_dword v108, off, s[40:43], 0 offset:44 ; 4-byte Folded Spill
	buffer_store_dword v109, off, s[40:43], 0 offset:48 ; 4-byte Folded Spill
	ds_read_b128 v[106:109], v99 offset:16608
	;; [unrolled: 6-line block ×3, first 2 shown]
	s_waitcnt lgkmcnt(0)
	buffer_store_dword v106, off, s[40:43], 0 offset:4 ; 4-byte Folded Spill
	buffer_store_dword v107, off, s[40:43], 0 offset:8 ; 4-byte Folded Spill
	;; [unrolled: 1-line block ×4, first 2 shown]
.LBB0_7:
	s_or_b32 exec_lo, exec_lo, s0
	v_add_nc_u32_e32 v104, 0x840, v105
	v_add_nc_u32_e32 v102, 0xc60, v105
	;; [unrolled: 1-line block ×4, first 2 shown]
	s_waitcnt lgkmcnt(9)
	v_mul_f64 v[105:106], v[146:147], v[94:95]
	s_mov_b32 s14, 0xf8bb580b
	s_mov_b32 s20, 0x8eee2c13
	;; [unrolled: 1-line block ×21, first 2 shown]
	v_fma_f64 v[105:106], v[144:145], v[92:93], v[105:106]
	v_mul_f64 v[92:93], v[146:147], v[92:93]
	s_mov_b32 s16, s20
	s_mov_b32 s25, 0x3fefac9e
	;; [unrolled: 1-line block ×7, first 2 shown]
	s_waitcnt lgkmcnt(0)
	s_waitcnt_vscnt null, 0x0
	s_barrier
	buffer_gl0_inv
	v_fma_f64 v[94:95], v[144:145], v[94:95], -v[92:93]
	v_mul_f64 v[92:93], v[138:139], v[90:91]
	v_add_f64 v[107:108], v[54:55], v[94:95]
	v_fma_f64 v[92:93], v[136:137], v[88:89], v[92:93]
	v_mul_f64 v[88:89], v[138:139], v[88:89]
	v_fma_f64 v[90:91], v[136:137], v[90:91], -v[88:89]
	v_mul_f64 v[88:89], v[134:135], v[86:87]
	v_add_f64 v[107:108], v[107:108], v[90:91]
	v_fma_f64 v[88:89], v[132:133], v[84:85], v[88:89]
	v_mul_f64 v[84:85], v[134:135], v[84:85]
	;; [unrolled: 5-line block ×9, first 2 shown]
	v_fma_f64 v[56:57], v[140:141], v[58:59], -v[56:57]
	v_add_f64 v[58:59], v[52:53], v[105:106]
	v_add_f64 v[118:119], v[107:108], v[56:57]
	v_add_f64 v[58:59], v[58:59], v[92:93]
	v_add_f64 v[107:108], v[94:95], v[56:57]
	v_add_f64 v[56:57], v[94:95], -v[56:57]
	v_add_f64 v[58:59], v[58:59], v[88:89]
	v_mul_f64 v[109:110], v[107:108], s[0:1]
	v_mul_f64 v[94:95], v[56:57], s[14:15]
	;; [unrolled: 1-line block ×10, first 2 shown]
	v_add_f64 v[58:59], v[58:59], v[84:85]
	v_add_f64 v[58:59], v[58:59], v[80:81]
	v_add_f64 v[58:59], v[58:59], v[78:79]
	v_add_f64 v[58:59], v[58:59], v[74:75]
	v_add_f64 v[58:59], v[58:59], v[70:71]
	v_add_f64 v[58:59], v[58:59], v[66:67]
	v_add_f64 v[116:117], v[58:59], v[62:63]
	v_add_f64 v[58:59], v[105:106], v[62:63]
	v_add_f64 v[62:63], v[105:106], -v[62:63]
	v_fma_f64 v[105:106], v[58:59], s[0:1], v[94:95]
	v_fma_f64 v[94:95], v[58:59], s[0:1], -v[94:95]
	v_fma_f64 v[124:125], v[58:59], s[8:9], v[122:123]
	v_fma_f64 v[122:123], v[58:59], s[8:9], -v[122:123]
	;; [unrolled: 2-line block ×5, first 2 shown]
	v_fma_f64 v[120:121], v[62:63], s[2:3], v[109:110]
	v_fma_f64 v[109:110], v[62:63], s[14:15], v[109:110]
	;; [unrolled: 1-line block ×9, first 2 shown]
	v_add_f64 v[58:59], v[90:91], v[60:61]
	v_add_f64 v[60:61], v[90:91], -v[60:61]
	v_add_f64 v[105:106], v[52:53], v[105:106]
	v_add_f64 v[94:95], v[52:53], v[94:95]
	;; [unrolled: 1-line block ×10, first 2 shown]
	v_fma_f64 v[56:57], v[62:63], s[30:31], v[107:108]
	v_add_f64 v[120:121], v[54:55], v[120:121]
	v_add_f64 v[109:110], v[54:55], v[109:110]
	;; [unrolled: 1-line block ×9, first 2 shown]
	v_add_f64 v[62:63], v[92:93], -v[66:67]
	v_add_f64 v[54:55], v[54:55], v[56:57]
	v_add_f64 v[56:57], v[92:93], v[66:67]
	v_mul_f64 v[66:67], v[60:61], s[20:21]
	v_mul_f64 v[92:93], v[58:59], s[8:9]
	v_fma_f64 v[90:91], v[56:57], s[8:9], v[66:67]
	v_fma_f64 v[66:67], v[56:57], s[8:9], -v[66:67]
	v_add_f64 v[90:91], v[90:91], v[105:106]
	v_add_f64 v[66:67], v[66:67], v[94:95]
	v_mul_f64 v[94:95], v[60:61], s[26:27]
	v_fma_f64 v[105:106], v[62:63], s[16:17], v[92:93]
	v_fma_f64 v[92:93], v[62:63], s[20:21], v[92:93]
	v_fma_f64 v[107:108], v[56:57], s[18:19], v[94:95]
	v_fma_f64 v[94:95], v[56:57], s[18:19], -v[94:95]
	v_add_f64 v[92:93], v[92:93], v[109:110]
	v_mul_f64 v[109:110], v[58:59], s[18:19]
	v_add_f64 v[105:106], v[105:106], v[120:121]
	v_add_f64 v[107:108], v[107:108], v[124:125]
	;; [unrolled: 1-line block ×3, first 2 shown]
	v_mul_f64 v[122:123], v[60:61], s[34:35]
	v_fma_f64 v[120:121], v[62:63], s[36:37], v[109:110]
	v_fma_f64 v[109:110], v[62:63], s[26:27], v[109:110]
	;; [unrolled: 1-line block ×3, first 2 shown]
	v_fma_f64 v[122:123], v[56:57], s[22:23], -v[122:123]
	v_add_f64 v[109:110], v[109:110], v[126:127]
	v_mul_f64 v[126:127], v[58:59], s[22:23]
	v_add_f64 v[120:121], v[120:121], v[128:129]
	v_add_f64 v[124:125], v[124:125], v[132:133]
	;; [unrolled: 1-line block ×3, first 2 shown]
	v_mul_f64 v[130:131], v[60:61], s[24:25]
	v_fma_f64 v[128:129], v[62:63], s[30:31], v[126:127]
	v_fma_f64 v[126:127], v[62:63], s[34:35], v[126:127]
	v_mul_f64 v[60:61], v[60:61], s[2:3]
	v_fma_f64 v[132:133], v[56:57], s[10:11], v[130:131]
	v_fma_f64 v[130:131], v[56:57], s[10:11], -v[130:131]
	v_add_f64 v[126:127], v[126:127], v[134:135]
	v_mul_f64 v[134:135], v[58:59], s[10:11]
	v_mul_f64 v[58:59], v[58:59], s[0:1]
	v_add_f64 v[128:129], v[128:129], v[136:137]
	v_add_f64 v[132:133], v[132:133], v[140:141]
	;; [unrolled: 1-line block ×3, first 2 shown]
	v_fma_f64 v[138:139], v[56:57], s[0:1], v[60:61]
	v_fma_f64 v[56:57], v[56:57], s[0:1], -v[60:61]
	v_add_f64 v[60:61], v[86:87], -v[64:65]
	v_fma_f64 v[136:137], v[62:63], s[28:29], v[134:135]
	v_fma_f64 v[134:135], v[62:63], s[24:25], v[134:135]
	;; [unrolled: 1-line block ×3, first 2 shown]
	v_add_f64 v[138:139], v[138:139], v[146:147]
	v_add_f64 v[56:57], v[56:57], v[52:53]
	v_fma_f64 v[52:53], v[62:63], s[2:3], v[58:59]
	v_mul_f64 v[62:63], v[60:61], s[28:29]
	v_add_f64 v[136:137], v[136:137], v[144:145]
	v_add_f64 v[134:135], v[134:135], v[142:143]
	v_add_f64 v[142:143], v[88:89], -v[70:71]
	v_add_f64 v[140:141], v[140:141], v[148:149]
	v_add_f64 v[58:59], v[52:53], v[54:55]
	;; [unrolled: 1-line block ×4, first 2 shown]
	v_fma_f64 v[64:65], v[54:55], s[10:11], v[62:63]
	v_fma_f64 v[62:63], v[54:55], s[10:11], -v[62:63]
	v_add_f64 v[144:145], v[64:65], v[90:91]
	v_mul_f64 v[64:65], v[52:53], s[10:11]
	v_add_f64 v[146:147], v[62:63], v[66:67]
	v_fma_f64 v[62:63], v[142:143], s[28:29], v[64:65]
	v_fma_f64 v[70:71], v[142:143], s[24:25], v[64:65]
	v_add_f64 v[148:149], v[62:63], v[92:93]
	v_mul_f64 v[62:63], v[60:61], s[34:35]
	v_add_f64 v[105:106], v[70:71], v[105:106]
	v_fma_f64 v[64:65], v[54:55], s[22:23], v[62:63]
	v_fma_f64 v[62:63], v[54:55], s[22:23], -v[62:63]
	v_add_f64 v[107:108], v[64:65], v[107:108]
	v_mul_f64 v[64:65], v[52:53], s[22:23]
	v_add_f64 v[94:95], v[62:63], v[94:95]
	v_fma_f64 v[62:63], v[142:143], s[34:35], v[64:65]
	v_fma_f64 v[66:67], v[142:143], s[30:31], v[64:65]
	v_add_f64 v[109:110], v[62:63], v[109:110]
	v_mul_f64 v[62:63], v[60:61], s[16:17]
	v_add_f64 v[120:121], v[66:67], v[120:121]
	v_fma_f64 v[64:65], v[54:55], s[8:9], v[62:63]
	v_fma_f64 v[62:63], v[54:55], s[8:9], -v[62:63]
	v_add_f64 v[92:93], v[64:65], v[124:125]
	v_mul_f64 v[64:65], v[52:53], s[8:9]
	v_add_f64 v[88:89], v[62:63], v[122:123]
	v_mul_f64 v[122:123], v[60:61], s[26:27]
	v_mul_f64 v[124:125], v[52:53], s[18:19]
	v_fma_f64 v[66:67], v[142:143], s[20:21], v[64:65]
	v_fma_f64 v[62:63], v[142:143], s[16:17], v[64:65]
	v_mul_f64 v[64:65], v[60:61], s[14:15]
	v_fma_f64 v[60:61], v[54:55], s[18:19], v[122:123]
	v_add_f64 v[86:87], v[66:67], v[128:129]
	v_add_f64 v[90:91], v[62:63], v[126:127]
	v_fma_f64 v[62:63], v[54:55], s[0:1], v[64:65]
	v_fma_f64 v[64:65], v[54:55], s[0:1], -v[64:65]
	v_fma_f64 v[54:55], v[54:55], s[18:19], -v[122:123]
	v_add_f64 v[122:123], v[82:83], v[68:69]
	v_mul_f64 v[66:67], v[52:53], s[0:1]
	v_fma_f64 v[52:53], v[142:143], s[36:37], v[124:125]
	v_add_f64 v[68:69], v[82:83], -v[68:69]
	v_add_f64 v[60:61], v[60:61], v[138:139]
	v_add_f64 v[70:71], v[62:63], v[132:133]
	;; [unrolled: 1-line block ×4, first 2 shown]
	v_fma_f64 v[56:57], v[142:143], s[26:27], v[124:125]
	v_mul_f64 v[124:125], v[122:123], s[18:19]
	v_fma_f64 v[62:63], v[142:143], s[2:3], v[66:67]
	v_fma_f64 v[66:67], v[142:143], s[14:15], v[66:67]
	v_add_f64 v[52:53], v[52:53], v[140:141]
	v_mul_f64 v[82:83], v[68:69], s[26:27]
	v_add_f64 v[142:143], v[76:77], v[72:73]
	v_add_f64 v[140:141], v[80:81], v[78:79]
	;; [unrolled: 1-line block ×4, first 2 shown]
	v_add_f64 v[74:75], v[84:85], -v[74:75]
	v_add_f64 v[62:63], v[62:63], v[136:137]
	v_add_f64 v[66:67], v[66:67], v[134:135]
	v_fma_f64 v[84:85], v[58:59], s[18:19], v[82:83]
	v_fma_f64 v[126:127], v[74:75], s[36:37], v[124:125]
	v_fma_f64 v[82:83], v[58:59], s[18:19], -v[82:83]
	v_fma_f64 v[124:125], v[74:75], s[26:27], v[124:125]
	v_add_f64 v[84:85], v[84:85], v[144:145]
	v_add_f64 v[105:106], v[126:127], v[105:106]
	v_mul_f64 v[126:127], v[68:69], s[24:25]
	v_add_f64 v[82:83], v[82:83], v[146:147]
	v_add_f64 v[146:147], v[76:77], -v[72:73]
	v_add_f64 v[144:145], v[80:81], -v[78:79]
	v_add_f64 v[124:125], v[124:125], v[148:149]
	v_fma_f64 v[128:129], v[58:59], s[10:11], v[126:127]
	v_fma_f64 v[126:127], v[58:59], s[10:11], -v[126:127]
	v_mul_f64 v[72:73], v[146:147], s[26:27]
	v_mul_f64 v[80:81], v[146:147], s[16:17]
	v_add_f64 v[107:108], v[128:129], v[107:108]
	v_mul_f64 v[128:129], v[122:123], s[10:11]
	v_add_f64 v[94:95], v[126:127], v[94:95]
	v_fma_f64 v[76:77], v[140:141], s[8:9], v[80:81]
	v_fma_f64 v[80:81], v[140:141], s[8:9], -v[80:81]
	v_fma_f64 v[126:127], v[74:75], s[24:25], v[128:129]
	v_fma_f64 v[130:131], v[74:75], s[28:29], v[128:129]
	v_add_f64 v[109:110], v[126:127], v[109:110]
	v_mul_f64 v[126:127], v[68:69], s[14:15]
	v_add_f64 v[120:121], v[130:131], v[120:121]
	v_fma_f64 v[128:129], v[58:59], s[0:1], v[126:127]
	v_fma_f64 v[126:127], v[58:59], s[0:1], -v[126:127]
	v_add_f64 v[92:93], v[128:129], v[92:93]
	v_mul_f64 v[128:129], v[122:123], s[0:1]
	v_add_f64 v[88:89], v[126:127], v[88:89]
	v_fma_f64 v[126:127], v[74:75], s[14:15], v[128:129]
	v_fma_f64 v[130:131], v[74:75], s[2:3], v[128:129]
	v_add_f64 v[90:91], v[126:127], v[90:91]
	v_mul_f64 v[126:127], v[68:69], s[30:31]
	v_add_f64 v[86:87], v[130:131], v[86:87]
	v_fma_f64 v[128:129], v[58:59], s[22:23], v[126:127]
	v_add_f64 v[128:129], v[128:129], v[70:71]
	v_mul_f64 v[70:71], v[122:123], s[22:23]
	v_add_f64 v[76:77], v[76:77], v[128:129]
	v_fma_f64 v[130:131], v[74:75], s[34:35], v[70:71]
	v_add_f64 v[130:131], v[130:131], v[62:63]
	v_fma_f64 v[62:63], v[58:59], s[22:23], -v[126:127]
	v_add_f64 v[126:127], v[62:63], v[64:65]
	v_fma_f64 v[62:63], v[74:75], s[30:31], v[70:71]
	v_add_f64 v[80:81], v[80:81], v[126:127]
	v_add_f64 v[132:133], v[62:63], v[66:67]
	v_mul_f64 v[62:63], v[68:69], s[16:17]
	v_fma_f64 v[68:69], v[140:141], s[18:19], v[72:73]
	v_fma_f64 v[72:73], v[140:141], s[18:19], -v[72:73]
	v_mul_f64 v[66:67], v[142:143], s[0:1]
	v_fma_f64 v[64:65], v[58:59], s[8:9], v[62:63]
	v_add_f64 v[68:69], v[68:69], v[92:93]
	v_add_f64 v[72:73], v[72:73], v[88:89]
	v_mul_f64 v[88:89], v[146:147], s[28:29]
	v_add_f64 v[134:135], v[64:65], v[60:61]
	v_mul_f64 v[60:61], v[122:123], s[8:9]
	v_fma_f64 v[64:65], v[74:75], s[20:21], v[60:61]
	v_add_f64 v[122:123], v[64:65], v[52:53]
	v_fma_f64 v[52:53], v[58:59], s[8:9], -v[62:63]
	v_mul_f64 v[58:59], v[142:143], s[22:23]
	v_mul_f64 v[64:65], v[146:147], s[2:3]
	v_fma_f64 v[62:63], v[144:145], s[14:15], v[66:67]
	v_fma_f64 v[66:67], v[144:145], s[2:3], v[66:67]
	v_add_f64 v[136:137], v[52:53], v[54:55]
	v_fma_f64 v[52:53], v[74:75], s[16:17], v[60:61]
	v_mul_f64 v[74:75], v[142:143], s[18:19]
	v_fma_f64 v[54:55], v[144:145], s[34:35], v[58:59]
	v_fma_f64 v[60:61], v[140:141], s[0:1], v[64:65]
	v_fma_f64 v[64:65], v[140:141], s[0:1], -v[64:65]
	v_fma_f64 v[58:59], v[144:145], s[30:31], v[58:59]
	v_add_f64 v[62:63], v[62:63], v[120:121]
	v_add_f64 v[66:67], v[66:67], v[109:110]
	;; [unrolled: 1-line block ×3, first 2 shown]
	v_mul_f64 v[56:57], v[146:147], s[30:31]
	v_fma_f64 v[70:71], v[144:145], s[36:37], v[74:75]
	v_fma_f64 v[74:75], v[144:145], s[26:27], v[74:75]
	v_add_f64 v[54:55], v[54:55], v[105:106]
	v_add_f64 v[60:61], v[60:61], v[107:108]
	v_add_f64 v[64:65], v[64:65], v[94:95]
	v_add_f64 v[58:59], v[58:59], v[124:125]
	v_fma_f64 v[52:53], v[140:141], s[22:23], v[56:57]
	v_fma_f64 v[56:57], v[140:141], s[22:23], -v[56:57]
	v_add_f64 v[74:75], v[74:75], v[90:91]
	v_mul_f64 v[90:91], v[142:143], s[10:11]
	v_add_f64 v[70:71], v[70:71], v[86:87]
	v_add_f64 v[52:53], v[52:53], v[84:85]
	;; [unrolled: 1-line block ×3, first 2 shown]
	v_mul_f64 v[82:83], v[142:143], s[8:9]
	v_fma_f64 v[84:85], v[140:141], s[10:11], v[88:89]
	v_fma_f64 v[86:87], v[144:145], s[24:25], v[90:91]
	v_fma_f64 v[88:89], v[140:141], s[10:11], -v[88:89]
	v_fma_f64 v[90:91], v[144:145], s[28:29], v[90:91]
	v_fma_f64 v[78:79], v[144:145], s[20:21], v[82:83]
	;; [unrolled: 1-line block ×3, first 2 shown]
	v_add_f64 v[84:85], v[84:85], v[134:135]
	v_add_f64 v[86:87], v[86:87], v[122:123]
	;; [unrolled: 1-line block ×6, first 2 shown]
	ds_write_b128 v103, v[116:119]
	ds_write_b128 v103, v[52:55] offset:96
	ds_write_b128 v103, v[60:63] offset:192
	;; [unrolled: 1-line block ×10, first 2 shown]
	s_and_saveexec_b32 s33, vcc_lo
	s_cbranch_execz .LBB0_9
; %bb.8:
	s_clause 0x17
	buffer_load_dword v66, off, s[40:43], 0 offset:552
	buffer_load_dword v67, off, s[40:43], 0 offset:556
	;; [unrolled: 1-line block ×24, first 2 shown]
	s_waitcnt vmcnt(20)
	v_mul_f64 v[52:53], v[68:69], v[42:43]
	v_mul_f64 v[56:57], v[68:69], v[40:41]
	s_waitcnt vmcnt(8)
	v_mul_f64 v[60:61], v[86:87], v[46:47]
	s_waitcnt vmcnt(0)
	v_mul_f64 v[62:63], v[134:135], v[138:139]
	v_mul_f64 v[54:55], v[76:77], v[90:91]
	;; [unrolled: 1-line block ×3, first 2 shown]
	s_clause 0xb
	buffer_load_dword v68, off, s[40:43], 0 offset:504
	buffer_load_dword v69, off, s[40:43], 0 offset:508
	;; [unrolled: 1-line block ×12, first 2 shown]
	v_mul_f64 v[72:73], v[86:87], v[44:45]
	v_mul_f64 v[80:81], v[134:135], v[136:137]
	s_clause 0x3
	buffer_load_dword v105, off, s[40:43], 0 offset:440
	buffer_load_dword v106, off, s[40:43], 0 offset:444
	;; [unrolled: 1-line block ×4, first 2 shown]
	v_fma_f64 v[76:77], v[66:67], v[40:41], v[52:53]
	v_fma_f64 v[78:79], v[66:67], v[42:43], -v[56:57]
	v_fma_f64 v[66:67], v[84:85], v[44:45], v[60:61]
	v_fma_f64 v[44:45], v[132:133], v[136:137], v[62:63]
	s_clause 0xf
	buffer_load_dword v116, off, s[40:43], 0 offset:456
	buffer_load_dword v117, off, s[40:43], 0 offset:460
	;; [unrolled: 1-line block ×16, first 2 shown]
	v_fma_f64 v[40:41], v[74:75], v[88:89], v[54:55]
	v_fma_f64 v[42:43], v[74:75], v[90:91], -v[58:59]
	v_fma_f64 v[72:73], v[84:85], v[46:47], -v[72:73]
	;; [unrolled: 1-line block ×3, first 2 shown]
	v_add_f64 v[74:75], v[76:77], -v[40:41]
	v_add_f64 v[84:85], v[78:79], -v[42:43]
	v_add_f64 v[80:81], v[78:79], v[42:43]
	v_add_f64 v[78:79], v[26:27], v[78:79]
	v_mul_f64 v[86:87], v[74:75], s[30:31]
	v_mul_f64 v[109:110], v[74:75], s[26:27]
	s_waitcnt vmcnt(28)
	v_mul_f64 v[52:53], v[70:71], v[50:51]
	s_waitcnt vmcnt(20)
	v_mul_f64 v[54:55], v[130:131], v[142:143]
	v_mul_f64 v[64:65], v[70:71], v[48:49]
	;; [unrolled: 1-line block ×3, first 2 shown]
	s_waitcnt vmcnt(16)
	v_mul_f64 v[82:83], v[107:108], v[30:31]
	v_mul_f64 v[92:93], v[107:108], v[28:29]
	s_waitcnt vmcnt(8)
	v_mul_f64 v[56:57], v[118:119], v[136:137]
	s_waitcnt vmcnt(4)
	;; [unrolled: 2-line block ×3, first 2 shown]
	v_mul_f64 v[60:61], v[122:123], v[38:39]
	v_mul_f64 v[88:89], v[126:127], v[32:33]
	v_fma_f64 v[62:63], v[68:69], v[48:49], v[52:53]
	v_fma_f64 v[48:49], v[128:129], v[140:141], v[54:55]
	v_mul_f64 v[90:91], v[122:123], v[36:37]
	v_mul_f64 v[94:95], v[118:119], v[134:135]
	v_fma_f64 v[68:69], v[68:69], v[50:51], -v[64:65]
	v_fma_f64 v[50:51], v[128:129], v[142:143], -v[70:71]
	v_fma_f64 v[64:65], v[105:106], v[28:29], v[82:83]
	v_add_f64 v[52:53], v[66:67], -v[44:45]
	v_add_f64 v[82:83], v[76:77], v[40:41]
	v_add_f64 v[118:119], v[66:67], v[44:45]
	v_fma_f64 v[70:71], v[105:106], v[30:31], -v[92:93]
	v_mul_f64 v[126:127], v[74:75], s[20:21]
	v_mul_f64 v[122:123], v[84:85], s[28:29]
	;; [unrolled: 1-line block ×3, first 2 shown]
	v_fma_f64 v[142:143], v[80:81], s[18:19], v[109:110]
	v_fma_f64 v[109:110], v[80:81], s[18:19], -v[109:110]
	v_fma_f64 v[28:29], v[116:117], v[134:135], v[56:57]
	v_fma_f64 v[54:55], v[124:125], v[32:33], v[58:59]
	;; [unrolled: 1-line block ×3, first 2 shown]
	v_fma_f64 v[60:61], v[124:125], v[34:35], -v[88:89]
	v_add_f64 v[124:125], v[24:25], v[76:77]
	v_add_f64 v[56:57], v[72:73], -v[46:47]
	v_add_f64 v[58:59], v[72:73], v[46:47]
	v_mul_f64 v[88:89], v[84:85], s[30:31]
	v_add_f64 v[72:73], v[78:79], v[72:73]
	v_fma_f64 v[30:31], v[116:117], v[136:137], -v[94:95]
	v_fma_f64 v[34:35], v[120:121], v[38:39], -v[90:91]
	v_add_f64 v[38:39], v[62:63], -v[48:49]
	v_add_f64 v[36:37], v[68:69], -v[50:51]
	v_mul_f64 v[92:93], v[52:53], s[2:3]
	v_fma_f64 v[94:95], v[80:81], s[22:23], v[86:87]
	v_add_f64 v[107:108], v[68:69], v[50:51]
	v_mul_f64 v[116:117], v[84:85], s[26:27]
	v_add_f64 v[90:91], v[62:63], v[48:49]
	v_mul_f64 v[120:121], v[74:75], s[28:29]
	v_mul_f64 v[74:75], v[74:75], s[14:15]
	v_fma_f64 v[86:87], v[80:81], s[22:23], -v[86:87]
	v_mul_f64 v[84:85], v[84:85], s[14:15]
	v_add_f64 v[105:106], v[64:65], -v[28:29]
	v_fma_f64 v[150:151], v[80:81], s[8:9], v[126:127]
	v_fma_f64 v[126:127], v[80:81], s[8:9], -v[126:127]
	v_add_f64 v[202:203], v[64:65], v[28:29]
	v_add_f64 v[66:67], v[124:125], v[66:67]
	v_mul_f64 v[136:137], v[56:57], s[2:3]
	v_fma_f64 v[148:149], v[82:83], s[10:11], -v[122:123]
	v_fma_f64 v[138:139], v[82:83], s[22:23], -v[88:89]
	v_fma_f64 v[88:89], v[82:83], s[22:23], v[88:89]
	v_add_f64 v[68:69], v[72:73], v[68:69]
	v_add_f64 v[76:77], v[70:71], v[30:31]
	v_add_f64 v[130:131], v[70:71], -v[30:31]
	v_mul_f64 v[132:133], v[38:39], s[26:27]
	v_mul_f64 v[134:135], v[36:37], s[26:27]
	v_fma_f64 v[140:141], v[58:59], s[0:1], v[92:93]
	v_add_f64 v[94:95], v[26:27], v[94:95]
	v_fma_f64 v[144:145], v[82:83], s[18:19], -v[116:117]
	v_fma_f64 v[116:117], v[82:83], s[18:19], v[116:117]
	v_fma_f64 v[146:147], v[80:81], s[10:11], v[120:121]
	v_fma_f64 v[120:121], v[80:81], s[10:11], -v[120:121]
	v_fma_f64 v[154:155], v[80:81], s[0:1], v[74:75]
	v_fma_f64 v[74:75], v[80:81], s[0:1], -v[74:75]
	v_add_f64 v[86:87], v[26:27], v[86:87]
	v_fma_f64 v[122:123], v[82:83], s[10:11], v[122:123]
	v_fma_f64 v[152:153], v[82:83], s[8:9], -v[128:129]
	v_fma_f64 v[128:129], v[82:83], s[8:9], v[128:129]
	v_add_f64 v[62:63], v[66:67], v[62:63]
	v_fma_f64 v[66:67], v[58:59], s[0:1], -v[92:93]
	v_fma_f64 v[72:73], v[118:119], s[0:1], v[136:137]
	v_fma_f64 v[200:201], v[82:83], s[0:1], -v[84:85]
	v_add_f64 v[88:89], v[24:25], v[88:89]
	v_add_f64 v[68:69], v[68:69], v[70:71]
	v_mul_f64 v[70:71], v[52:53], s[24:25]
	v_fma_f64 v[82:83], v[82:83], s[0:1], v[84:85]
	v_fma_f64 v[84:85], v[118:119], s[0:1], -v[136:137]
	v_add_f64 v[142:143], v[26:27], v[142:143]
	v_add_f64 v[109:110], v[26:27], v[109:110]
	v_add_f64 v[94:95], v[140:141], v[94:95]
	v_fma_f64 v[140:141], v[107:108], s[18:19], v[132:133]
	v_add_f64 v[144:145], v[24:25], v[144:145]
	v_add_f64 v[146:147], v[26:27], v[146:147]
	;; [unrolled: 1-line block ×7, first 2 shown]
	v_fma_f64 v[26:27], v[90:91], s[18:19], -v[134:135]
	v_fma_f64 v[132:133], v[107:108], s[18:19], -v[132:133]
	v_add_f64 v[62:63], v[62:63], v[64:65]
	v_mul_f64 v[64:65], v[56:57], s[24:25]
	v_add_f64 v[66:67], v[66:67], v[86:87]
	v_mul_f64 v[136:137], v[36:37], s[14:15]
	;; [unrolled: 2-line block ×3, first 2 shown]
	v_fma_f64 v[78:79], v[58:59], s[10:11], v[70:71]
	v_fma_f64 v[70:71], v[58:59], s[10:11], -v[70:71]
	v_fma_f64 v[134:135], v[90:91], s[18:19], v[134:135]
	v_mul_f64 v[80:81], v[105:106], s[16:17]
	v_add_f64 v[138:139], v[24:25], v[138:139]
	v_mul_f64 v[124:125], v[38:39], s[14:15]
	v_add_f64 v[116:117], v[24:25], v[116:117]
	v_add_f64 v[148:149], v[24:25], v[148:149]
	;; [unrolled: 1-line block ×7, first 2 shown]
	v_mul_f64 v[92:93], v[56:57], s[34:35]
	v_mul_f64 v[204:205], v[130:131], s[16:17]
	v_add_f64 v[206:207], v[54:55], v[32:33]
	v_fma_f64 v[86:87], v[118:119], s[10:11], -v[64:65]
	v_add_f64 v[66:67], v[132:133], v[66:67]
	v_fma_f64 v[132:133], v[90:91], s[0:1], -v[136:137]
	v_fma_f64 v[64:65], v[118:119], s[10:11], v[64:65]
	v_fma_f64 v[136:137], v[90:91], s[0:1], v[136:137]
	v_add_f64 v[78:79], v[78:79], v[142:143]
	v_add_f64 v[70:71], v[70:71], v[109:110]
	v_fma_f64 v[109:110], v[58:59], s[22:23], v[88:89]
	v_fma_f64 v[88:89], v[58:59], s[22:23], -v[88:89]
	v_add_f64 v[72:73], v[134:135], v[72:73]
	v_mul_f64 v[134:135], v[38:39], s[16:17]
	v_add_f64 v[24:25], v[84:85], v[138:139]
	v_add_f64 v[84:85], v[140:141], v[94:95]
	v_fma_f64 v[94:95], v[76:77], s[8:9], v[80:81]
	v_fma_f64 v[80:81], v[76:77], s[8:9], -v[80:81]
	v_add_f64 v[138:139], v[60:61], v[34:35]
	v_fma_f64 v[142:143], v[202:203], s[8:9], v[204:205]
	v_add_f64 v[86:87], v[86:87], v[144:145]
	v_add_f64 v[64:65], v[64:65], v[116:117]
	v_fma_f64 v[116:117], v[118:119], s[22:23], -v[92:93]
	v_fma_f64 v[92:93], v[118:119], s[22:23], v[92:93]
	v_add_f64 v[109:110], v[109:110], v[146:147]
	v_add_f64 v[88:89], v[88:89], v[120:121]
	v_fma_f64 v[120:121], v[107:108], s[0:1], v[124:125]
	v_fma_f64 v[124:125], v[107:108], s[0:1], -v[124:125]
	v_add_f64 v[24:25], v[26:27], v[24:25]
	v_fma_f64 v[26:27], v[202:203], s[8:9], -v[204:205]
	v_add_f64 v[84:85], v[94:95], v[84:85]
	v_add_f64 v[94:95], v[54:55], -v[32:33]
	v_add_f64 v[66:67], v[80:81], v[66:67]
	v_add_f64 v[54:55], v[62:63], v[54:55]
	;; [unrolled: 1-line block ×3, first 2 shown]
	v_mul_f64 v[142:143], v[105:106], s[14:15]
	v_add_f64 v[86:87], v[132:133], v[86:87]
	v_fma_f64 v[132:133], v[107:108], s[8:9], v[134:135]
	v_fma_f64 v[134:135], v[107:108], s[8:9], -v[134:135]
	v_add_f64 v[64:65], v[136:137], v[64:65]
	v_add_f64 v[116:117], v[116:117], v[148:149]
	v_mul_f64 v[136:137], v[105:106], s[30:31]
	v_add_f64 v[92:93], v[92:93], v[122:123]
	v_add_f64 v[78:79], v[120:121], v[78:79]
	v_mul_f64 v[120:121], v[36:37], s[16:17]
	;; [unrolled: 3-line block ×3, first 2 shown]
	v_mul_f64 v[146:147], v[94:95], s[2:3]
	v_add_f64 v[32:33], v[54:55], v[32:33]
	v_add_f64 v[109:110], v[132:133], v[109:110]
	v_mul_f64 v[132:133], v[130:131], s[30:31]
	v_add_f64 v[88:89], v[134:135], v[88:89]
	v_fma_f64 v[124:125], v[90:91], s[8:9], -v[120:121]
	v_fma_f64 v[120:121], v[90:91], s[8:9], v[120:121]
	v_fma_f64 v[26:27], v[138:139], s[10:11], v[140:141]
	v_add_f64 v[28:29], v[32:33], v[28:29]
	v_fma_f64 v[80:81], v[202:203], s[22:23], -v[132:133]
	v_fma_f64 v[132:133], v[202:203], s[22:23], v[132:133]
	v_add_f64 v[116:117], v[124:125], v[116:117]
	v_fma_f64 v[124:125], v[76:77], s[22:23], v[136:137]
	v_fma_f64 v[136:137], v[76:77], s[22:23], -v[136:137]
	v_add_f64 v[92:93], v[120:121], v[92:93]
	v_add_f64 v[26:27], v[26:27], v[84:85]
	v_add_f64 v[84:85], v[60:61], -v[34:35]
	v_add_f64 v[60:61], v[68:69], v[60:61]
	v_mul_f64 v[68:69], v[38:39], s[34:35]
	v_mul_f64 v[38:39], v[38:39], s[28:29]
	v_add_f64 v[28:29], v[28:29], v[48:49]
	v_add_f64 v[80:81], v[80:81], v[86:87]
	v_mul_f64 v[86:87], v[130:131], s[14:15]
	v_add_f64 v[64:65], v[132:133], v[64:65]
	v_fma_f64 v[132:133], v[76:77], s[0:1], v[142:143]
	v_fma_f64 v[142:143], v[76:77], s[0:1], -v[142:143]
	v_add_f64 v[78:79], v[124:125], v[78:79]
	v_mul_f64 v[124:125], v[52:53], s[26:27]
	v_add_f64 v[70:71], v[136:137], v[70:71]
	v_mul_f64 v[136:137], v[56:57], s[26:27]
	v_mul_f64 v[52:53], v[52:53], s[20:21]
	v_mul_f64 v[56:57], v[56:57], s[20:21]
	v_add_f64 v[34:35], v[60:61], v[34:35]
	v_mul_f64 v[54:55], v[84:85], s[16:17]
	v_mul_f64 v[212:213], v[84:85], s[28:29]
	;; [unrolled: 1-line block ×4, first 2 shown]
	v_fma_f64 v[62:63], v[202:203], s[0:1], -v[86:87]
	v_fma_f64 v[86:87], v[202:203], s[0:1], v[86:87]
	v_add_f64 v[109:110], v[132:133], v[109:110]
	v_add_f64 v[88:89], v[142:143], v[88:89]
	;; [unrolled: 1-line block ×3, first 2 shown]
	v_fma_f64 v[122:123], v[58:59], s[18:19], -v[124:125]
	v_fma_f64 v[124:125], v[58:59], s[18:19], v[124:125]
	v_fma_f64 v[132:133], v[118:119], s[18:19], -v[136:137]
	v_fma_f64 v[120:121], v[58:59], s[8:9], -v[52:53]
	v_fma_f64 v[134:135], v[118:119], s[8:9], v[56:57]
	v_fma_f64 v[56:57], v[118:119], s[8:9], -v[56:57]
	v_add_f64 v[30:31], v[34:35], v[30:31]
	v_fma_f64 v[32:33], v[206:207], s[8:9], -v[54:55]
	v_fma_f64 v[54:55], v[206:207], s[8:9], v[54:55]
	v_fma_f64 v[52:53], v[58:59], s[8:9], v[52:53]
	;; [unrolled: 1-line block ×3, first 2 shown]
	v_fma_f64 v[60:61], v[138:139], s[8:9], -v[60:61]
	v_fma_f64 v[58:59], v[138:139], s[10:11], -v[140:141]
	v_add_f64 v[62:63], v[62:63], v[116:117]
	v_fma_f64 v[116:117], v[118:119], s[18:19], v[136:137]
	v_mul_f64 v[136:137], v[36:37], s[34:35]
	v_mul_f64 v[36:37], v[36:37], s[28:29]
	v_fma_f64 v[118:119], v[107:108], s[10:11], v[38:39]
	v_fma_f64 v[38:39], v[107:108], s[10:11], -v[38:39]
	v_add_f64 v[86:87], v[86:87], v[92:93]
	v_fma_f64 v[140:141], v[206:207], s[10:11], v[212:213]
	v_fma_f64 v[214:215], v[206:207], s[10:11], -v[212:213]
	v_add_f64 v[122:123], v[122:123], v[126:127]
	v_fma_f64 v[126:127], v[107:108], s[22:23], -v[68:69]
	v_fma_f64 v[68:69], v[107:108], s[22:23], v[68:69]
	v_mul_f64 v[107:108], v[105:106], s[24:25]
	v_add_f64 v[74:75], v[120:121], v[74:75]
	v_add_f64 v[82:83], v[134:135], v[82:83]
	v_mul_f64 v[134:135], v[130:131], s[24:25]
	v_mul_f64 v[105:106], v[105:106], s[26:27]
	;; [unrolled: 1-line block ×3, first 2 shown]
	v_add_f64 v[56:57], v[56:57], v[200:201]
	v_add_f64 v[30:31], v[30:31], v[50:51]
	;; [unrolled: 1-line block ×6, first 2 shown]
	v_fma_f64 v[128:129], v[90:91], s[22:23], v[136:137]
	v_fma_f64 v[120:121], v[90:91], s[10:11], v[36:37]
	v_fma_f64 v[36:37], v[90:91], s[10:11], -v[36:37]
	v_fma_f64 v[136:137], v[90:91], s[22:23], -v[136:137]
	v_fma_f64 v[92:93], v[138:139], s[0:1], v[146:147]
	v_add_f64 v[28:29], v[140:141], v[72:73]
	v_add_f64 v[24:25], v[214:215], v[24:25]
	v_add_f64 v[34:35], v[34:35], v[78:79]
	v_add_f64 v[122:123], v[126:127], v[122:123]
	v_mul_f64 v[126:127], v[94:95], s[26:27]
	v_mul_f64 v[94:95], v[94:95], s[30:31]
	v_add_f64 v[38:39], v[38:39], v[74:75]
	v_fma_f64 v[74:75], v[76:77], s[10:11], -v[107:108]
	v_fma_f64 v[107:108], v[76:77], s[10:11], v[107:108]
	v_fma_f64 v[50:51], v[76:77], s[18:19], -v[105:106]
	v_fma_f64 v[76:77], v[76:77], s[18:19], v[105:106]
	;; [unrolled: 2-line block ×3, first 2 shown]
	v_add_f64 v[68:69], v[68:69], v[124:125]
	v_fma_f64 v[124:125], v[206:207], s[18:19], -v[144:145]
	v_add_f64 v[52:53], v[118:119], v[52:53]
	v_fma_f64 v[118:119], v[206:207], s[18:19], v[144:145]
	v_add_f64 v[116:117], v[128:129], v[116:117]
	v_mul_f64 v[128:129], v[84:85], s[2:3]
	v_add_f64 v[36:37], v[36:37], v[56:57]
	v_add_f64 v[82:83], v[120:121], v[82:83]
	v_fma_f64 v[120:121], v[202:203], s[10:11], v[134:135]
	v_mul_f64 v[84:85], v[84:85], s[30:31]
	v_fma_f64 v[134:135], v[202:203], s[10:11], -v[134:135]
	v_add_f64 v[132:133], v[136:137], v[132:133]
	v_add_f64 v[136:137], v[30:31], v[46:47]
	v_fma_f64 v[56:57], v[138:139], s[18:19], -v[126:127]
	v_fma_f64 v[90:91], v[138:139], s[18:19], v[126:127]
	v_fma_f64 v[126:127], v[138:139], s[0:1], -v[146:147]
	v_add_f64 v[74:75], v[74:75], v[122:123]
	v_add_f64 v[30:31], v[58:59], v[66:67]
	;; [unrolled: 1-line block ×8, first 2 shown]
	v_fma_f64 v[122:123], v[206:207], s[0:1], v[128:129]
	v_add_f64 v[105:106], v[105:106], v[36:37]
	v_add_f64 v[36:37], v[54:55], v[64:65]
	;; [unrolled: 1-line block ×3, first 2 shown]
	buffer_load_dword v41, off, s[40:43], 0 offset:360 ; 4-byte Folded Reload
	v_mov_b32_e32 v40, 0x42
	v_add_f64 v[116:117], v[120:121], v[116:117]
	v_fma_f64 v[120:121], v[138:139], s[22:23], -v[94:95]
	v_fma_f64 v[130:131], v[206:207], s[22:23], v[84:85]
	v_add_f64 v[82:83], v[48:49], v[82:83]
	v_fma_f64 v[107:108], v[206:207], s[0:1], -v[128:129]
	v_add_f64 v[128:129], v[134:135], v[132:133]
	v_fma_f64 v[94:95], v[138:139], s[22:23], v[94:95]
	v_fma_f64 v[84:85], v[206:207], s[22:23], -v[84:85]
	v_add_f64 v[44:45], v[56:57], v[88:89]
	v_add_f64 v[56:57], v[136:137], v[42:43]
	;; [unrolled: 1-line block ×12, first 2 shown]
	s_waitcnt vmcnt(0)
	v_mul_u32_u24_sdwa v40, v41, v40 dst_sel:DWORD dst_unused:UNUSED_PAD src0_sel:WORD_0 src1_sel:DWORD
	buffer_load_dword v41, off, s[40:43], 0 offset:356 ; 4-byte Folded Reload
	s_waitcnt vmcnt(0)
	v_add_nc_u32_sdwa v40, v40, v41 dst_sel:DWORD dst_unused:UNUSED_PAD src0_sel:DWORD src1_sel:BYTE_0
	buffer_load_dword v41, off, s[40:43], 0 offset:436 ; 4-byte Folded Reload
	s_waitcnt vmcnt(0)
	v_lshl_add_u32 v40, v40, 4, v41
	ds_write_b128 v40, v[54:57]
	ds_write_b128 v40, v[50:53] offset:96
	ds_write_b128 v40, v[46:49] offset:192
	ds_write_b128 v40, v[42:45] offset:288
	ds_write_b128 v40, v[36:39] offset:384
	ds_write_b128 v40, v[28:31] offset:480
	ds_write_b128 v40, v[24:27] offset:576
	ds_write_b128 v40, v[32:35] offset:672
	ds_write_b128 v40, v[58:61] offset:768
	ds_write_b128 v40, v[62:65] offset:864
	ds_write_b128 v40, v[66:69] offset:960
.LBB0_9:
	s_or_b32 exec_lo, exec_lo, s33
	s_waitcnt lgkmcnt(0)
	s_barrier
	buffer_gl0_inv
	ds_read_b128 v[24:27], v99 offset:9504
	ds_read_b128 v[28:31], v99 offset:10560
	;; [unrolled: 1-line block ×8, first 2 shown]
	s_mov_b32 s0, 0xe8584caa
	s_mov_b32 s1, 0xbfebb67a
	;; [unrolled: 1-line block ×4, first 2 shown]
	s_waitcnt lgkmcnt(7)
	v_mul_f64 v[56:57], v[114:115], v[26:27]
	v_mul_f64 v[58:59], v[114:115], v[24:25]
	s_waitcnt lgkmcnt(6)
	v_mul_f64 v[60:61], v[114:115], v[30:31]
	v_mul_f64 v[62:63], v[114:115], v[28:29]
	;; [unrolled: 3-line block ×3, first 2 shown]
	v_mul_f64 v[66:67], v[182:183], v[32:33]
	v_mul_f64 v[68:69], v[174:175], v[42:43]
	v_fma_f64 v[72:73], v[112:113], v[24:25], v[56:57]
	v_fma_f64 v[74:75], v[112:113], v[26:27], -v[58:59]
	ds_read_b128 v[24:27], v99 offset:16896
	v_fma_f64 v[76:77], v[112:113], v[28:29], v[60:61]
	v_fma_f64 v[78:79], v[112:113], v[30:31], -v[62:63]
	ds_read_b128 v[28:31], v99 offset:17952
	v_fma_f64 v[88:89], v[172:173], v[42:43], -v[70:71]
	v_fma_f64 v[80:81], v[180:181], v[32:33], v[64:65]
	v_fma_f64 v[82:83], v[180:181], v[34:35], -v[66:67]
	s_waitcnt lgkmcnt(2)
	v_mul_f64 v[64:65], v[186:187], v[54:55]
	v_mul_f64 v[66:67], v[186:187], v[52:53]
	v_fma_f64 v[86:87], v[172:173], v[40:41], v[68:69]
	ds_read_b128 v[32:35], v99
	ds_read_b128 v[40:43], v99 offset:1056
	v_mul_f64 v[56:57], v[178:179], v[46:47]
	v_mul_f64 v[58:59], v[178:179], v[44:45]
	v_mul_f64 v[60:61], v[190:191], v[50:51]
	v_mul_f64 v[62:63], v[190:191], v[48:49]
	s_waitcnt lgkmcnt(3)
	v_mul_f64 v[84:85], v[198:199], v[26:27]
	v_mul_f64 v[68:69], v[198:199], v[24:25]
	s_waitcnt lgkmcnt(2)
	v_mul_f64 v[70:71], v[194:195], v[30:31]
	v_mul_f64 v[90:91], v[194:195], v[28:29]
	v_fma_f64 v[109:110], v[184:185], v[52:53], v[64:65]
	v_fma_f64 v[111:112], v[184:185], v[54:55], -v[66:67]
	s_waitcnt lgkmcnt(0)
	v_add_f64 v[64:65], v[40:41], -v[76:77]
	v_add_f64 v[66:67], v[42:43], -v[78:79]
	v_fma_f64 v[92:93], v[176:177], v[44:45], v[56:57]
	v_fma_f64 v[94:95], v[176:177], v[46:47], -v[58:59]
	v_fma_f64 v[105:106], v[188:189], v[48:49], v[60:61]
	v_fma_f64 v[107:108], v[188:189], v[50:51], -v[62:63]
	ds_read_b128 v[44:47], v99 offset:2112
	ds_read_b128 v[48:51], v99 offset:3168
	;; [unrolled: 1-line block ×4, first 2 shown]
	v_fma_f64 v[113:114], v[196:197], v[24:25], v[84:85]
	v_fma_f64 v[115:116], v[196:197], v[26:27], -v[68:69]
	ds_read_b128 v[24:27], v99 offset:6336
	ds_read_b128 v[60:63], v99 offset:7392
	v_fma_f64 v[117:118], v[192:193], v[28:29], v[70:71]
	v_fma_f64 v[119:120], v[192:193], v[30:31], -v[90:91]
	v_add_f64 v[28:29], v[32:33], -v[72:73]
	v_add_f64 v[30:31], v[34:35], -v[74:75]
	s_waitcnt lgkmcnt(0)
	s_barrier
	buffer_gl0_inv
	v_fma_f64 v[40:41], v[40:41], 2.0, -v[64:65]
	v_fma_f64 v[42:43], v[42:43], 2.0, -v[66:67]
	v_add_f64 v[68:69], v[44:45], -v[80:81]
	v_add_f64 v[70:71], v[46:47], -v[82:83]
	;; [unrolled: 1-line block ×13, first 2 shown]
	v_fma_f64 v[32:33], v[32:33], 2.0, -v[28:29]
	v_fma_f64 v[34:35], v[34:35], 2.0, -v[30:31]
	v_add_f64 v[94:95], v[38:39], -v[119:120]
	ds_write_b128 v99, v[28:31] offset:1056
	ds_write_b128 v99, v[64:67] offset:3168
	ds_write_b128 v99, v[32:35]
	ds_write_b128 v99, v[40:43] offset:2112
	buffer_load_dword v28, off, s[40:43], 0 offset:412 ; 4-byte Folded Reload
	v_fma_f64 v[44:45], v[44:45], 2.0, -v[68:69]
	v_fma_f64 v[46:47], v[46:47], 2.0, -v[70:71]
	;; [unrolled: 1-line block ×14, first 2 shown]
	s_waitcnt vmcnt(0)
	ds_write_b128 v28, v[44:47] offset:4224
	ds_write_b128 v28, v[68:71] offset:5280
	buffer_load_dword v28, off, s[40:43], 0 offset:404 ; 4-byte Folded Reload
	s_waitcnt vmcnt(0)
	ds_write_b128 v28, v[48:51] offset:6336
	ds_write_b128 v28, v[72:75] offset:7392
	buffer_load_dword v28, off, s[40:43], 0 offset:396 ; 4-byte Folded Reload
	;; [unrolled: 4-line block ×6, first 2 shown]
	s_waitcnt vmcnt(0)
	ds_write_b128 v24, v[36:39] offset:16896
	ds_write_b128 v24, v[92:95] offset:17952
	s_waitcnt lgkmcnt(0)
	s_barrier
	buffer_gl0_inv
	ds_read_b128 v[24:27], v99 offset:6336
	ds_read_b128 v[28:31], v99 offset:12672
	;; [unrolled: 1-line block ×8, first 2 shown]
	ds_read_b128 v[56:59], v99
	ds_read_b128 v[60:63], v99 offset:1056
	ds_read_b128 v[64:67], v99 offset:10560
	;; [unrolled: 1-line block ×4, first 2 shown]
	s_waitcnt lgkmcnt(12)
	v_mul_f64 v[76:77], v[170:171], v[26:27]
	s_waitcnt lgkmcnt(11)
	v_mul_f64 v[78:79], v[166:167], v[30:31]
	;; [unrolled: 2-line block ×4, first 2 shown]
	v_mul_f64 v[80:81], v[170:171], v[24:25]
	v_mul_f64 v[82:83], v[166:167], v[28:29]
	;; [unrolled: 1-line block ×4, first 2 shown]
	s_waitcnt lgkmcnt(7)
	v_mul_f64 v[92:93], v[170:171], v[46:47]
	v_mul_f64 v[105:106], v[166:167], v[42:43]
	;; [unrolled: 1-line block ×3, first 2 shown]
	s_waitcnt lgkmcnt(6)
	v_mul_f64 v[107:108], v[162:163], v[48:49]
	s_waitcnt lgkmcnt(5)
	v_mul_f64 v[109:110], v[158:159], v[54:55]
	v_mul_f64 v[111:112], v[158:159], v[52:53]
	s_waitcnt lgkmcnt(2)
	v_mul_f64 v[113:114], v[210:211], v[66:67]
	s_waitcnt lgkmcnt(0)
	v_mul_f64 v[117:118], v[222:223], v[74:75]
	v_mul_f64 v[115:116], v[210:211], v[64:65]
	;; [unrolled: 1-line block ×4, first 2 shown]
	v_fma_f64 v[76:77], v[168:169], v[24:25], v[76:77]
	v_fma_f64 v[78:79], v[164:165], v[28:29], v[78:79]
	;; [unrolled: 1-line block ×4, first 2 shown]
	v_fma_f64 v[80:81], v[168:169], v[26:27], -v[80:81]
	v_fma_f64 v[82:83], v[164:165], v[30:31], -v[82:83]
	v_mul_f64 v[36:37], v[166:167], v[40:41]
	v_fma_f64 v[88:89], v[160:161], v[34:35], -v[88:89]
	v_fma_f64 v[90:91], v[156:157], v[38:39], -v[90:91]
	ds_read_b128 v[24:27], v99 offset:17952
	v_mul_f64 v[38:39], v[162:163], v[50:51]
	v_fma_f64 v[92:93], v[168:169], v[44:45], v[92:93]
	v_fma_f64 v[105:106], v[164:165], v[40:41], v[105:106]
	v_fma_f64 v[94:95], v[168:169], v[46:47], -v[94:95]
	v_mul_f64 v[46:47], v[226:227], v[68:69]
	ds_read_b128 v[28:31], v99 offset:2112
	ds_read_b128 v[32:35], v99 offset:3168
	v_fma_f64 v[107:108], v[160:161], v[50:51], -v[107:108]
	v_fma_f64 v[109:110], v[156:157], v[52:53], v[109:110]
	v_fma_f64 v[111:112], v[156:157], v[54:55], -v[111:112]
	v_fma_f64 v[113:114], v[208:209], v[64:65], v[113:114]
	v_fma_f64 v[72:73], v[220:221], v[72:73], v[117:118]
	v_fma_f64 v[66:67], v[208:209], v[66:67], -v[115:116]
	v_fma_f64 v[74:75], v[220:221], v[74:75], -v[119:120]
	v_add_f64 v[44:45], v[76:77], v[78:79]
	v_add_f64 v[54:55], v[60:61], v[84:85]
	;; [unrolled: 1-line block ×5, first 2 shown]
	v_fma_f64 v[125:126], v[164:165], v[42:43], -v[36:37]
	s_waitcnt lgkmcnt(2)
	v_mul_f64 v[36:37], v[246:247], v[26:27]
	v_mul_f64 v[42:43], v[246:247], v[24:25]
	v_add_f64 v[127:128], v[88:89], v[90:91]
	v_fma_f64 v[129:130], v[160:161], v[48:49], v[38:39]
	v_add_f64 v[48:49], v[56:57], v[76:77]
	v_add_f64 v[50:51], v[80:81], -v[82:83]
	v_add_f64 v[64:65], v[76:77], -v[78:79]
	;; [unrolled: 1-line block ×3, first 2 shown]
	v_fma_f64 v[68:69], v[224:225], v[68:69], v[121:122]
	v_fma_f64 v[70:71], v[224:225], v[70:71], -v[46:47]
	v_add_f64 v[46:47], v[62:63], v[88:89]
	v_add_f64 v[80:81], v[84:85], -v[86:87]
	s_waitcnt lgkmcnt(1)
	v_add_f64 v[88:89], v[28:29], v[92:93]
	v_add_f64 v[117:118], v[92:93], v[105:106]
	v_fma_f64 v[56:57], v[44:45], -0.5, v[56:57]
	v_add_f64 v[44:45], v[54:55], v[86:87]
	v_fma_f64 v[60:61], v[40:41], -0.5, v[60:61]
	;; [unrolled: 2-line block ×3, first 2 shown]
	v_add_f64 v[119:120], v[94:95], v[125:126]
	v_fma_f64 v[84:85], v[244:245], v[24:25], v[36:37]
	v_fma_f64 v[115:116], v[244:245], v[26:27], -v[42:43]
	v_fma_f64 v[62:63], v[127:128], -0.5, v[62:63]
	v_add_f64 v[121:122], v[129:130], v[109:110]
	v_add_f64 v[123:124], v[107:108], v[111:112]
	v_add_f64 v[127:128], v[113:114], v[72:73]
	v_add_f64 v[40:41], v[48:49], v[78:79]
	v_add_f64 v[42:43], v[52:53], v[82:83]
	ds_read_b128 v[24:27], v99 offset:4224
	ds_read_b128 v[36:39], v99 offset:5280
	v_add_f64 v[82:83], v[94:95], -v[125:126]
	v_add_f64 v[46:47], v[46:47], v[90:91]
	s_waitcnt lgkmcnt(2)
	v_add_f64 v[90:91], v[32:33], v[129:130]
	v_add_f64 v[94:95], v[107:108], -v[111:112]
	v_fma_f64 v[28:29], v[117:118], -0.5, v[28:29]
	v_add_f64 v[117:118], v[129:130], -v[109:110]
	s_waitcnt lgkmcnt(0)
	v_fma_f64 v[48:49], v[50:51], s[0:1], v[56:57]
	v_fma_f64 v[52:53], v[50:51], s[2:3], v[56:57]
	;; [unrolled: 1-line block ×4, first 2 shown]
	v_add_f64 v[76:77], v[66:67], v[74:75]
	v_fma_f64 v[50:51], v[64:65], s[2:3], v[58:59]
	v_fma_f64 v[54:55], v[64:65], s[0:1], v[58:59]
	v_add_f64 v[78:79], v[68:69], v[84:85]
	v_fma_f64 v[58:59], v[80:81], s[2:3], v[62:63]
	v_fma_f64 v[62:63], v[80:81], s[0:1], v[62:63]
	v_add_f64 v[80:81], v[70:71], v[115:116]
	v_add_f64 v[64:65], v[88:89], v[105:106]
	v_fma_f64 v[30:31], v[119:120], -0.5, v[30:31]
	v_add_f64 v[88:89], v[92:93], -v[105:106]
	v_add_f64 v[105:106], v[34:35], v[107:108]
	v_fma_f64 v[92:93], v[121:122], -0.5, v[32:33]
	v_fma_f64 v[107:108], v[123:124], -0.5, v[34:35]
	v_add_f64 v[119:120], v[24:25], v[113:114]
	v_fma_f64 v[121:122], v[127:128], -0.5, v[24:25]
	v_add_f64 v[127:128], v[26:27], v[66:67]
	v_add_f64 v[123:124], v[66:67], -v[74:75]
	v_add_f64 v[113:114], v[113:114], -v[72:73]
	v_add_f64 v[131:132], v[36:37], v[68:69]
	v_add_f64 v[137:138], v[38:39], v[70:71]
	v_add_f64 v[135:136], v[70:71], -v[115:116]
	v_add_f64 v[141:142], v[68:69], -v[84:85]
	v_fma_f64 v[129:130], v[76:77], -0.5, v[26:27]
	v_add_f64 v[66:67], v[86:87], v[125:126]
	v_fma_f64 v[24:25], v[82:83], s[0:1], v[28:29]
	v_fma_f64 v[133:134], v[78:79], -0.5, v[36:37]
	v_fma_f64 v[28:29], v[82:83], s[2:3], v[28:29]
	v_add_f64 v[32:33], v[90:91], v[109:110]
	v_fma_f64 v[139:140], v[80:81], -0.5, v[38:39]
	s_barrier
	buffer_gl0_inv
	v_fma_f64 v[26:27], v[88:89], s[2:3], v[30:31]
	v_fma_f64 v[30:31], v[88:89], s[0:1], v[30:31]
	v_add_f64 v[34:35], v[105:106], v[111:112]
	v_fma_f64 v[36:37], v[94:95], s[0:1], v[92:93]
	v_fma_f64 v[38:39], v[117:118], s[2:3], v[107:108]
	;; [unrolled: 1-line block ×4, first 2 shown]
	v_add_f64 v[72:73], v[119:120], v[72:73]
	v_add_f64 v[74:75], v[127:128], v[74:75]
	v_fma_f64 v[76:77], v[123:124], s[0:1], v[121:122]
	v_fma_f64 v[80:81], v[123:124], s[2:3], v[121:122]
	v_add_f64 v[84:85], v[131:132], v[84:85]
	v_add_f64 v[86:87], v[137:138], v[115:116]
	v_fma_f64 v[78:79], v[113:114], s[2:3], v[129:130]
	v_fma_f64 v[82:83], v[113:114], s[0:1], v[129:130]
	;; [unrolled: 1-line block ×6, first 2 shown]
	ds_write_b128 v99, v[40:43]
	ds_write_b128 v99, v[48:51] offset:2112
	ds_write_b128 v99, v[52:55] offset:4224
	;; [unrolled: 1-line block ×17, first 2 shown]
	s_waitcnt lgkmcnt(0)
	s_barrier
	buffer_gl0_inv
	ds_read_b128 v[24:27], v99 offset:6336
	ds_read_b128 v[28:31], v99 offset:12672
	;; [unrolled: 1-line block ×8, first 2 shown]
	s_waitcnt lgkmcnt(7)
	v_mul_f64 v[56:57], v[230:231], v[26:27]
	s_waitcnt lgkmcnt(6)
	v_mul_f64 v[58:59], v[234:235], v[30:31]
	v_mul_f64 v[68:69], v[230:231], v[24:25]
	;; [unrolled: 1-line block ×3, first 2 shown]
	s_waitcnt lgkmcnt(5)
	v_mul_f64 v[74:75], v[238:239], v[32:33]
	s_waitcnt lgkmcnt(4)
	v_mul_f64 v[78:79], v[242:243], v[36:37]
	v_mul_f64 v[72:73], v[238:239], v[34:35]
	;; [unrolled: 1-line block ×3, first 2 shown]
	s_waitcnt lgkmcnt(3)
	v_mul_f64 v[86:87], v[2:3], v[42:43]
	v_mul_f64 v[2:3], v[2:3], v[40:41]
	s_waitcnt lgkmcnt(2)
	v_mul_f64 v[90:91], v[254:255], v[46:47]
	v_mul_f64 v[92:93], v[254:255], v[44:45]
	;; [unrolled: 3-line block ×4, first 2 shown]
	v_fma_f64 v[80:81], v[228:229], v[24:25], v[56:57]
	v_fma_f64 v[82:83], v[232:233], v[28:29], v[58:59]
	ds_read_b128 v[56:59], v99 offset:10560
	ds_read_b128 v[60:63], v99 offset:16896
	;; [unrolled: 1-line block ×3, first 2 shown]
	v_fma_f64 v[84:85], v[228:229], v[26:27], -v[68:69]
	v_fma_f64 v[88:89], v[232:233], v[30:31], -v[70:71]
	v_fma_f64 v[74:75], v[236:237], v[34:35], -v[74:75]
	v_fma_f64 v[78:79], v[240:241], v[38:39], -v[78:79]
	v_fma_f64 v[72:73], v[236:237], v[32:33], v[72:73]
	ds_read_b128 v[24:27], v99
	ds_read_b128 v[28:31], v99 offset:1056
	ds_read_b128 v[32:35], v99 offset:17952
	v_fma_f64 v[76:77], v[240:241], v[36:37], v[76:77]
	v_fma_f64 v[40:41], v[0:1], v[40:41], v[86:87]
	v_fma_f64 v[42:43], v[0:1], v[42:43], -v[2:3]
	v_fma_f64 v[44:45], v[252:253], v[44:45], v[90:91]
	v_fma_f64 v[46:47], v[252:253], v[46:47], -v[92:93]
	v_fma_f64 v[48:49], v[248:249], v[48:49], v[94:95]
	v_fma_f64 v[50:51], v[248:249], v[50:51], -v[97:98]
	v_fma_f64 v[52:53], v[4:5], v[52:53], v[105:106]
	v_fma_f64 v[54:55], v[4:5], v[54:55], -v[6:7]
	ds_read_b128 v[36:39], v99 offset:2112
	ds_read_b128 v[68:71], v99 offset:3168
	s_waitcnt lgkmcnt(7)
	v_mul_f64 v[107:108], v[10:11], v[58:59]
	v_mul_f64 v[10:11], v[10:11], v[56:57]
	s_waitcnt lgkmcnt(6)
	v_mul_f64 v[111:112], v[14:15], v[62:63]
	v_add_f64 v[109:110], v[80:81], v[82:83]
	v_mul_f64 v[0:1], v[14:15], v[60:61]
	s_waitcnt lgkmcnt(5)
	v_mul_f64 v[2:3], v[18:19], v[66:67]
	v_add_f64 v[86:87], v[84:85], v[88:89]
	v_mul_f64 v[18:19], v[18:19], v[64:65]
	v_add_f64 v[90:91], v[74:75], v[78:79]
	s_waitcnt lgkmcnt(2)
	v_mul_f64 v[92:93], v[22:23], v[34:35]
	v_mul_f64 v[22:23], v[22:23], v[32:33]
	v_add_f64 v[14:15], v[72:73], v[76:77]
	v_add_f64 v[94:95], v[74:75], -v[78:79]
	v_add_f64 v[74:75], v[30:31], v[74:75]
	v_add_f64 v[97:98], v[48:49], v[52:53]
	v_fma_f64 v[56:57], v[8:9], v[56:57], v[107:108]
	v_fma_f64 v[58:59], v[8:9], v[58:59], -v[10:11]
	v_add_f64 v[8:9], v[24:25], v[80:81]
	v_fma_f64 v[10:11], v[109:110], -0.5, v[24:25]
	v_add_f64 v[24:25], v[84:85], -v[88:89]
	v_add_f64 v[84:85], v[26:27], v[84:85]
	v_fma_f64 v[60:61], v[12:13], v[60:61], v[111:112]
	v_fma_f64 v[26:27], v[86:87], -0.5, v[26:27]
	v_add_f64 v[80:81], v[80:81], -v[82:83]
	v_fma_f64 v[62:63], v[12:13], v[62:63], -v[0:1]
	v_add_f64 v[86:87], v[28:29], v[72:73]
	v_fma_f64 v[64:65], v[16:17], v[64:65], v[2:3]
	v_fma_f64 v[66:67], v[16:17], v[66:67], -v[18:19]
	v_fma_f64 v[30:31], v[90:91], -0.5, v[30:31]
	v_add_f64 v[72:73], v[72:73], -v[76:77]
	v_fma_f64 v[90:91], v[20:21], v[32:33], v[92:93]
	v_fma_f64 v[92:93], v[20:21], v[34:35], -v[22:23]
	v_add_f64 v[34:35], v[40:41], v[44:45]
	s_waitcnt lgkmcnt(1)
	v_add_f64 v[32:33], v[36:37], v[40:41]
	v_fma_f64 v[28:29], v[14:15], -0.5, v[28:29]
	ds_read_b128 v[0:3], v99 offset:4224
	ds_read_b128 v[4:7], v99 offset:5280
	v_add_f64 v[22:23], v[74:75], v[78:79]
	v_add_f64 v[40:41], v[40:41], -v[44:45]
	v_add_f64 v[78:79], v[50:51], -v[54:55]
	v_add_f64 v[8:9], v[8:9], v[82:83]
	v_add_f64 v[82:83], v[42:43], v[46:47]
	v_fma_f64 v[12:13], v[24:25], s[0:1], v[10:11]
	v_fma_f64 v[16:17], v[24:25], s[2:3], v[10:11]
	v_add_f64 v[10:11], v[84:85], v[88:89]
	v_add_f64 v[84:85], v[50:51], v[54:55]
	v_fma_f64 v[14:15], v[80:81], s[2:3], v[26:27]
	v_fma_f64 v[18:19], v[80:81], s[0:1], v[26:27]
	v_add_f64 v[20:21], v[86:87], v[76:77]
	v_add_f64 v[76:77], v[56:57], v[60:61]
	;; [unrolled: 1-line block ×3, first 2 shown]
	s_waitcnt lgkmcnt(2)
	v_add_f64 v[50:51], v[70:71], v[50:51]
	v_fma_f64 v[26:27], v[72:73], s[2:3], v[30:31]
	v_add_f64 v[74:75], v[64:65], v[90:91]
	v_fma_f64 v[30:31], v[72:73], s[0:1], v[30:31]
	v_add_f64 v[72:73], v[66:67], v[92:93]
	v_fma_f64 v[34:35], v[34:35], -0.5, v[36:37]
	v_add_f64 v[36:37], v[42:43], -v[46:47]
	v_add_f64 v[42:43], v[38:39], v[42:43]
	v_add_f64 v[32:33], v[32:33], v[44:45]
	;; [unrolled: 1-line block ×3, first 2 shown]
	v_fma_f64 v[68:69], v[97:98], -0.5, v[68:69]
	v_add_f64 v[48:49], v[48:49], -v[52:53]
	v_fma_f64 v[38:39], v[82:83], -0.5, v[38:39]
	s_waitcnt lgkmcnt(1)
	v_add_f64 v[82:83], v[0:1], v[56:57]
	v_add_f64 v[86:87], v[56:57], -v[60:61]
	v_fma_f64 v[24:25], v[94:95], s[0:1], v[28:29]
	v_fma_f64 v[70:71], v[84:85], -0.5, v[70:71]
	v_add_f64 v[84:85], v[58:59], -v[62:63]
	v_add_f64 v[58:59], v[2:3], v[58:59]
	v_fma_f64 v[28:29], v[94:95], s[2:3], v[28:29]
	v_fma_f64 v[76:77], v[76:77], -0.5, v[0:1]
	v_fma_f64 v[80:81], v[80:81], -0.5, v[2:3]
	s_waitcnt lgkmcnt(0)
	v_add_f64 v[88:89], v[4:5], v[64:65]
	v_add_f64 v[94:95], v[66:67], -v[92:93]
	v_add_f64 v[66:67], v[6:7], v[66:67]
	v_fma_f64 v[74:75], v[74:75], -0.5, v[4:5]
	v_fma_f64 v[72:73], v[72:73], -0.5, v[6:7]
	v_add_f64 v[97:98], v[64:65], -v[90:91]
	v_fma_f64 v[0:1], v[36:37], s[0:1], v[34:35]
	v_fma_f64 v[4:5], v[36:37], s[2:3], v[34:35]
	v_add_f64 v[34:35], v[42:43], v[46:47]
	v_add_f64 v[36:37], v[44:45], v[52:53]
	v_fma_f64 v[44:45], v[78:79], s[2:3], v[68:69]
	v_fma_f64 v[2:3], v[40:41], s[2:3], v[38:39]
	;; [unrolled: 1-line block ×3, first 2 shown]
	v_add_f64 v[38:39], v[50:51], v[54:55]
	v_fma_f64 v[40:41], v[78:79], s[0:1], v[68:69]
	v_fma_f64 v[42:43], v[48:49], s[2:3], v[70:71]
	;; [unrolled: 1-line block ×3, first 2 shown]
	v_add_f64 v[48:49], v[82:83], v[60:61]
	v_add_f64 v[50:51], v[58:59], v[62:63]
	v_fma_f64 v[52:53], v[84:85], s[0:1], v[76:77]
	v_fma_f64 v[54:55], v[86:87], s[2:3], v[80:81]
	;; [unrolled: 1-line block ×4, first 2 shown]
	v_add_f64 v[60:61], v[88:89], v[90:91]
	v_add_f64 v[62:63], v[66:67], v[92:93]
	v_fma_f64 v[64:65], v[94:95], s[0:1], v[74:75]
	v_fma_f64 v[66:67], v[97:98], s[2:3], v[72:73]
	;; [unrolled: 1-line block ×4, first 2 shown]
	ds_write_b128 v99, v[8:11]
	ds_write_b128 v99, v[12:15] offset:6336
	ds_write_b128 v99, v[16:19] offset:12672
	;; [unrolled: 1-line block ×17, first 2 shown]
	s_waitcnt lgkmcnt(0)
	s_barrier
	buffer_gl0_inv
	ds_read_b128 v[0:3], v99
	ds_read_b128 v[4:7], v99 offset:1056
	s_clause 0x3
	buffer_load_dword v16, off, s[40:43], 0 offset:84
	buffer_load_dword v17, off, s[40:43], 0 offset:88
	;; [unrolled: 1-line block ×4, first 2 shown]
	ds_read_b128 v[8:11], v99 offset:3168
	v_mad_u64_u32 v[32:33], null, s6, v96, 0
	s_mov_b32 s0, 0x2b18ff23
	s_mov_b32 s1, 0x3f4b951e
	s_mul_i32 s2, s5, 0xc60
	s_mul_hi_u32 s3, s4, 0xc60
	s_add_i32 s3, s3, s2
	s_mul_i32 s2, s4, 0xc60
	s_waitcnt vmcnt(0) lgkmcnt(2)
	v_mul_f64 v[12:13], v[18:19], v[2:3]
	v_mul_f64 v[14:15], v[18:19], v[0:1]
	v_fma_f64 v[20:21], v[16:17], v[0:1], v[12:13]
	v_fma_f64 v[22:23], v[16:17], v[2:3], -v[14:15]
	ds_read_b128 v[0:3], v99 offset:2112
	s_clause 0x4
	buffer_load_dword v46, off, s[40:43], 0 offset:340
	buffer_load_dword v47, off, s[40:43], 0 offset:344
	;; [unrolled: 1-line block ×4, first 2 shown]
	buffer_load_dword v26, off, s[40:43], 0
	v_mov_b32_e32 v16, v33
	ds_read_b128 v[12:15], v99 offset:6336
	v_mad_u64_u32 v[24:25], null, s7, v96, v[16:17]
	ds_read_b128 v[16:19], v99 offset:9504
	v_mov_b32_e32 v33, v24
	v_mul_f64 v[20:21], v[20:21], s[0:1]
	v_mul_f64 v[22:23], v[22:23], s[0:1]
	s_waitcnt vmcnt(1) lgkmcnt(3)
	v_mul_f64 v[34:35], v[48:49], v[10:11]
	v_mul_f64 v[36:37], v[48:49], v[8:9]
	s_waitcnt vmcnt(0)
	v_mad_u64_u32 v[38:39], null, s4, v26, 0
	v_mov_b32_e32 v25, v39
	v_mad_u64_u32 v[39:40], null, s5, v26, v[25:26]
	ds_read_b128 v[24:27], v99 offset:7392
	s_clause 0x3
	buffer_load_dword v58, off, s[40:43], 0 offset:276
	buffer_load_dword v59, off, s[40:43], 0 offset:280
	;; [unrolled: 1-line block ×4, first 2 shown]
	ds_read_b128 v[28:31], v99 offset:12672
	s_mulk_i32 s5, 0xc640
	v_fma_f64 v[44:45], v[46:47], v[8:9], v[34:35]
	v_fma_f64 v[46:47], v[46:47], v[10:11], -v[36:37]
	ds_read_b128 v[8:11], v99 offset:8448
	s_clause 0x3
	buffer_load_dword v66, off, s[40:43], 0 offset:212
	buffer_load_dword v67, off, s[40:43], 0 offset:216
	;; [unrolled: 1-line block ×4, first 2 shown]
	v_lshlrev_b64 v[36:37], 4, v[32:33]
	v_lshlrev_b64 v[38:39], 4, v[38:39]
	ds_read_b128 v[32:35], v99 offset:15840
	s_sub_i32 s5, s5, s4
	v_add_co_u32 v36, vcc_lo, s12, v36
	v_add_co_ci_u32_e32 v37, vcc_lo, s13, v37, vcc_lo
	v_add_co_u32 v64, vcc_lo, v36, v38
	v_add_co_ci_u32_e32 v65, vcc_lo, v37, v39, vcc_lo
	ds_read_b128 v[36:39], v99 offset:13728
	s_waitcnt vmcnt(4) lgkmcnt(6)
	v_mul_f64 v[40:41], v[60:61], v[14:15]
	v_mul_f64 v[42:43], v[60:61], v[12:13]
	s_waitcnt vmcnt(0) lgkmcnt(5)
	v_mul_f64 v[48:49], v[68:69], v[18:19]
	v_mul_f64 v[50:51], v[68:69], v[16:17]
	s_clause 0x3
	buffer_load_dword v68, off, s[40:43], 0 offset:228
	buffer_load_dword v69, off, s[40:43], 0 offset:232
	;; [unrolled: 1-line block ×4, first 2 shown]
	v_fma_f64 v[56:57], v[58:59], v[12:13], v[40:41]
	v_fma_f64 v[58:59], v[58:59], v[14:15], -v[42:43]
	ds_read_b128 v[40:43], v99 offset:14784
	v_mul_f64 v[12:13], v[44:45], s[0:1]
	v_mul_f64 v[14:15], v[46:47], s[0:1]
	v_fma_f64 v[46:47], v[66:67], v[16:17], v[48:49]
	v_fma_f64 v[50:51], v[66:67], v[18:19], -v[50:51]
	v_add_co_u32 v66, vcc_lo, v64, s2
	v_add_co_ci_u32_e32 v67, vcc_lo, s3, v65, vcc_lo
	s_waitcnt vmcnt(0) lgkmcnt(4)
	v_mul_f64 v[52:53], v[70:71], v[30:31]
	v_mul_f64 v[54:55], v[70:71], v[28:29]
	s_clause 0x3
	buffer_load_dword v70, off, s[40:43], 0 offset:196
	buffer_load_dword v71, off, s[40:43], 0 offset:200
	;; [unrolled: 1-line block ×4, first 2 shown]
	v_fma_f64 v[52:53], v[68:69], v[28:29], v[52:53]
	v_mul_f64 v[28:29], v[56:57], s[0:1]
	v_fma_f64 v[54:55], v[68:69], v[30:31], -v[54:55]
	v_mul_f64 v[30:31], v[58:59], s[0:1]
	v_add_co_u32 v68, vcc_lo, v66, s2
	v_add_co_ci_u32_e32 v69, vcc_lo, s3, v67, vcc_lo
	v_add_co_u32 v76, vcc_lo, v68, s2
	v_add_co_ci_u32_e32 v77, vcc_lo, s3, v69, vcc_lo
	;; [unrolled: 2-line block ×3, first 2 shown]
	s_waitcnt vmcnt(0) lgkmcnt(2)
	v_mul_f64 v[44:45], v[72:73], v[34:35]
	v_mul_f64 v[48:49], v[72:73], v[32:33]
	s_clause 0x3
	buffer_load_dword v72, off, s[40:43], 0 offset:68
	buffer_load_dword v73, off, s[40:43], 0 offset:72
	;; [unrolled: 1-line block ×4, first 2 shown]
	ds_read_b128 v[16:19], v99 offset:4224
	v_fma_f64 v[56:57], v[70:71], v[32:33], v[44:45]
	v_mul_f64 v[32:33], v[46:47], s[0:1]
	ds_read_b128 v[44:47], v99 offset:10560
	v_fma_f64 v[70:71], v[70:71], v[34:35], -v[48:49]
	v_mul_f64 v[48:49], v[52:53], s[0:1]
	v_mul_f64 v[34:35], v[50:51], s[0:1]
	;; [unrolled: 1-line block ×5, first 2 shown]
	v_add_co_u32 v70, vcc_lo, v82, s2
	v_add_co_ci_u32_e32 v71, vcc_lo, s3, v83, vcc_lo
	s_waitcnt vmcnt(0)
	v_mul_f64 v[60:61], v[74:75], v[6:7]
	v_mul_f64 v[62:63], v[74:75], v[4:5]
	v_fma_f64 v[60:61], v[72:73], v[4:5], v[60:61]
	v_fma_f64 v[62:63], v[72:73], v[6:7], -v[62:63]
	ds_read_b128 v[4:7], v99 offset:5280
	s_clause 0x7
	buffer_load_dword v92, off, s[40:43], 0 offset:260
	buffer_load_dword v93, off, s[40:43], 0 offset:264
	;; [unrolled: 1-line block ×8, first 2 shown]
	ds_read_b128 v[56:59], v99 offset:11616
	v_mul_f64 v[60:61], v[60:61], s[0:1]
	v_mul_f64 v[62:63], v[62:63], s[0:1]
	s_waitcnt vmcnt(4) lgkmcnt(3)
	v_mul_f64 v[72:73], v[94:95], v[18:19]
	v_mul_f64 v[74:75], v[94:95], v[16:17]
	s_clause 0x3
	buffer_load_dword v94, off, s[40:43], 0 offset:292
	buffer_load_dword v95, off, s[40:43], 0 offset:296
	;; [unrolled: 1-line block ×4, first 2 shown]
	s_waitcnt vmcnt(4)
	v_mul_f64 v[78:79], v[90:91], v[26:27]
	v_mul_f64 v[80:81], v[90:91], v[24:25]
	global_store_dwordx4 v[64:65], v[20:23], off
	global_store_dwordx4 v[66:67], v[12:15], off
	;; [unrolled: 1-line block ×3, first 2 shown]
	v_mad_u64_u32 v[20:21], null, 0xffffc640, s4, v[70:71]
	global_store_dwordx4 v[76:77], v[32:35], off
	global_store_dwordx4 v[82:83], v[48:51], off
	ds_read_b128 v[12:15], v99 offset:16896
	v_add_nc_u32_e32 v21, s5, v21
	global_store_dwordx4 v[70:71], v[52:55], off
	global_store_dwordx4 v[20:21], v[60:63], off
	s_clause 0x3
	buffer_load_dword v62, off, s[40:43], 0 offset:116
	buffer_load_dword v63, off, s[40:43], 0 offset:120
	;; [unrolled: 1-line block ×4, first 2 shown]
	v_fma_f64 v[16:17], v[92:93], v[16:17], v[72:73]
	v_fma_f64 v[18:19], v[92:93], v[18:19], -v[74:75]
	v_fma_f64 v[22:23], v[88:89], v[24:25], v[78:79]
	v_fma_f64 v[24:25], v[88:89], v[26:27], -v[80:81]
	v_mul_f64 v[16:17], v[16:17], s[0:1]
	v_mul_f64 v[18:19], v[18:19], s[0:1]
	s_waitcnt vmcnt(4) lgkmcnt(3)
	v_mul_f64 v[84:85], v[96:97], v[46:47]
	v_mul_f64 v[86:87], v[96:97], v[44:45]
	s_waitcnt vmcnt(0)
	v_mul_f64 v[32:33], v[64:65], v[38:39]
	v_mul_f64 v[34:35], v[64:65], v[36:37]
	v_fma_f64 v[26:27], v[94:95], v[44:45], v[84:85]
	v_fma_f64 v[28:29], v[94:95], v[46:47], -v[86:87]
	v_add_co_u32 v44, vcc_lo, v20, s2
	v_add_co_ci_u32_e32 v45, vcc_lo, s3, v21, vcc_lo
	v_mul_f64 v[20:21], v[22:23], s[0:1]
	v_mul_f64 v[22:23], v[24:25], s[0:1]
	v_add_co_u32 v46, vcc_lo, v44, s2
	v_add_co_ci_u32_e32 v47, vcc_lo, s3, v45, vcc_lo
	v_add_co_u32 v60, vcc_lo, v46, s2
	v_add_co_ci_u32_e32 v61, vcc_lo, s3, v47, vcc_lo
	v_fma_f64 v[32:33], v[62:63], v[36:37], v[32:33]
	v_fma_f64 v[34:35], v[62:63], v[38:39], -v[34:35]
	v_add_co_u32 v62, vcc_lo, v60, s2
	v_mul_f64 v[24:25], v[26:27], s[0:1]
	v_mul_f64 v[26:27], v[28:29], s[0:1]
	ds_read_b128 v[28:31], v99 offset:17952
	s_clause 0x3
	buffer_load_dword v80, off, s[40:43], 0 offset:100
	buffer_load_dword v81, off, s[40:43], 0 offset:104
	;; [unrolled: 1-line block ×4, first 2 shown]
	v_add_co_ci_u32_e32 v63, vcc_lo, s3, v61, vcc_lo
	s_waitcnt vmcnt(0) lgkmcnt(1)
	v_mul_f64 v[48:49], v[82:83], v[14:15]
	v_mul_f64 v[50:51], v[82:83], v[12:13]
	s_clause 0x3
	buffer_load_dword v82, off, s[40:43], 0 offset:132
	buffer_load_dword v83, off, s[40:43], 0 offset:136
	buffer_load_dword v84, off, s[40:43], 0 offset:140
	buffer_load_dword v85, off, s[40:43], 0 offset:144
	v_fma_f64 v[12:13], v[80:81], v[12:13], v[48:49]
	v_fma_f64 v[14:15], v[80:81], v[14:15], -v[50:51]
	s_waitcnt vmcnt(0)
	v_mul_f64 v[52:53], v[84:85], v[2:3]
	v_mul_f64 v[54:55], v[84:85], v[0:1]
	s_clause 0x3
	buffer_load_dword v84, off, s[40:43], 0 offset:148
	buffer_load_dword v85, off, s[40:43], 0 offset:152
	;; [unrolled: 1-line block ×4, first 2 shown]
	v_fma_f64 v[48:49], v[82:83], v[0:1], v[52:53]
	v_fma_f64 v[50:51], v[82:83], v[2:3], -v[54:55]
	v_add_co_u32 v52, vcc_lo, v62, s2
	v_add_co_ci_u32_e32 v53, vcc_lo, s3, v63, vcc_lo
	v_mul_f64 v[0:1], v[32:33], s[0:1]
	v_mul_f64 v[2:3], v[34:35], s[0:1]
	s_waitcnt vmcnt(0)
	v_mul_f64 v[36:37], v[86:87], v[6:7]
	v_mul_f64 v[38:39], v[86:87], v[4:5]
	s_clause 0x3
	buffer_load_dword v86, off, s[40:43], 0 offset:180
	buffer_load_dword v87, off, s[40:43], 0 offset:184
	;; [unrolled: 1-line block ×4, first 2 shown]
	v_fma_f64 v[36:37], v[84:85], v[4:5], v[36:37]
	v_fma_f64 v[38:39], v[84:85], v[6:7], -v[38:39]
	v_mul_f64 v[4:5], v[12:13], s[0:1]
	v_mul_f64 v[6:7], v[14:15], s[0:1]
	;; [unrolled: 1-line block ×4, first 2 shown]
	s_waitcnt vmcnt(0)
	v_mul_f64 v[64:65], v[88:89], v[10:11]
	v_mul_f64 v[66:67], v[88:89], v[8:9]
	s_clause 0x3
	buffer_load_dword v88, off, s[40:43], 0 offset:244
	buffer_load_dword v89, off, s[40:43], 0 offset:248
	buffer_load_dword v90, off, s[40:43], 0 offset:252
	buffer_load_dword v91, off, s[40:43], 0 offset:256
	s_waitcnt vmcnt(0)
	v_mul_f64 v[68:69], v[90:91], v[58:59]
	v_mul_f64 v[70:71], v[90:91], v[56:57]
	s_clause 0x3
	buffer_load_dword v90, off, s[40:43], 0 offset:308
	buffer_load_dword v91, off, s[40:43], 0 offset:312
	buffer_load_dword v92, off, s[40:43], 0 offset:316
	buffer_load_dword v93, off, s[40:43], 0 offset:320
	s_waitcnt vmcnt(0)
	v_mul_f64 v[72:73], v[92:93], v[42:43]
	v_mul_f64 v[74:75], v[92:93], v[40:41]
	s_clause 0x3
	buffer_load_dword v92, off, s[40:43], 0 offset:324
	buffer_load_dword v93, off, s[40:43], 0 offset:328
	buffer_load_dword v94, off, s[40:43], 0 offset:332
	buffer_load_dword v95, off, s[40:43], 0 offset:336
	global_store_dwordx4 v[44:45], v[16:19], off
	global_store_dwordx4 v[46:47], v[20:23], off
	v_fma_f64 v[16:17], v[86:87], v[8:9], v[64:65]
	v_fma_f64 v[18:19], v[86:87], v[10:11], -v[66:67]
	v_fma_f64 v[20:21], v[88:89], v[56:57], v[68:69]
	v_fma_f64 v[22:23], v[88:89], v[58:59], -v[70:71]
	v_mad_u64_u32 v[44:45], null, 0xffffc640, s4, v[52:53]
	v_mul_f64 v[8:9], v[48:49], s[0:1]
	v_mul_f64 v[10:11], v[50:51], s[0:1]
	global_store_dwordx4 v[60:61], v[24:27], off
	global_store_dwordx4 v[62:63], v[0:3], off
	;; [unrolled: 1-line block ×3, first 2 shown]
	v_add_nc_u32_e32 v45, s5, v45
	v_add_co_u32 v32, vcc_lo, v44, s2
	v_add_co_ci_u32_e32 v33, vcc_lo, s3, v45, vcc_lo
	v_fma_f64 v[40:41], v[90:91], v[40:41], v[72:73]
	v_fma_f64 v[42:43], v[90:91], v[42:43], -v[74:75]
	v_add_co_u32 v34, vcc_lo, v32, s2
	v_mul_f64 v[16:17], v[16:17], s[0:1]
	v_mul_f64 v[18:19], v[18:19], s[0:1]
	;; [unrolled: 1-line block ×4, first 2 shown]
	v_add_co_ci_u32_e32 v35, vcc_lo, s3, v33, vcc_lo
	v_add_co_u32 v0, vcc_lo, v34, s2
	global_store_dwordx4 v[44:45], v[8:11], off
	v_add_co_ci_u32_e32 v1, vcc_lo, s3, v35, vcc_lo
	v_add_co_u32 v2, vcc_lo, v0, s2
	v_add_co_ci_u32_e32 v3, vcc_lo, s3, v1, vcc_lo
	v_add_co_u32 v4, vcc_lo, v2, s2
	v_mul_f64 v[24:25], v[40:41], s[0:1]
	v_mul_f64 v[26:27], v[42:43], s[0:1]
	v_add_co_ci_u32_e32 v5, vcc_lo, s3, v3, vcc_lo
	s_waitcnt vmcnt(0) lgkmcnt(0)
	v_mul_f64 v[76:77], v[94:95], v[30:31]
	v_mul_f64 v[78:79], v[94:95], v[28:29]
	v_fma_f64 v[28:29], v[92:93], v[28:29], v[76:77]
	v_fma_f64 v[30:31], v[92:93], v[30:31], -v[78:79]
	v_mul_f64 v[28:29], v[28:29], s[0:1]
	v_mul_f64 v[30:31], v[30:31], s[0:1]
	global_store_dwordx4 v[32:33], v[12:15], off
	global_store_dwordx4 v[34:35], v[16:19], off
	;; [unrolled: 1-line block ×5, first 2 shown]
.LBB0_10:
	s_endpgm
	.section	.rodata,"a",@progbits
	.p2align	6, 0x0
	.amdhsa_kernel bluestein_single_fwd_len1188_dim1_dp_op_CI_CI
		.amdhsa_group_segment_fixed_size 57024
		.amdhsa_private_segment_fixed_size 612
		.amdhsa_kernarg_size 104
		.amdhsa_user_sgpr_count 6
		.amdhsa_user_sgpr_private_segment_buffer 1
		.amdhsa_user_sgpr_dispatch_ptr 0
		.amdhsa_user_sgpr_queue_ptr 0
		.amdhsa_user_sgpr_kernarg_segment_ptr 1
		.amdhsa_user_sgpr_dispatch_id 0
		.amdhsa_user_sgpr_flat_scratch_init 0
		.amdhsa_user_sgpr_private_segment_size 0
		.amdhsa_wavefront_size32 1
		.amdhsa_uses_dynamic_stack 0
		.amdhsa_system_sgpr_private_segment_wavefront_offset 1
		.amdhsa_system_sgpr_workgroup_id_x 1
		.amdhsa_system_sgpr_workgroup_id_y 0
		.amdhsa_system_sgpr_workgroup_id_z 0
		.amdhsa_system_sgpr_workgroup_info 0
		.amdhsa_system_vgpr_workitem_id 0
		.amdhsa_next_free_vgpr 256
		.amdhsa_next_free_sgpr 44
		.amdhsa_reserve_vcc 1
		.amdhsa_reserve_flat_scratch 0
		.amdhsa_float_round_mode_32 0
		.amdhsa_float_round_mode_16_64 0
		.amdhsa_float_denorm_mode_32 3
		.amdhsa_float_denorm_mode_16_64 3
		.amdhsa_dx10_clamp 1
		.amdhsa_ieee_mode 1
		.amdhsa_fp16_overflow 0
		.amdhsa_workgroup_processor_mode 1
		.amdhsa_memory_ordered 1
		.amdhsa_forward_progress 0
		.amdhsa_shared_vgpr_count 0
		.amdhsa_exception_fp_ieee_invalid_op 0
		.amdhsa_exception_fp_denorm_src 0
		.amdhsa_exception_fp_ieee_div_zero 0
		.amdhsa_exception_fp_ieee_overflow 0
		.amdhsa_exception_fp_ieee_underflow 0
		.amdhsa_exception_fp_ieee_inexact 0
		.amdhsa_exception_int_div_zero 0
	.end_amdhsa_kernel
	.text
.Lfunc_end0:
	.size	bluestein_single_fwd_len1188_dim1_dp_op_CI_CI, .Lfunc_end0-bluestein_single_fwd_len1188_dim1_dp_op_CI_CI
                                        ; -- End function
	.section	.AMDGPU.csdata,"",@progbits
; Kernel info:
; codeLenInByte = 32376
; NumSgprs: 46
; NumVgprs: 256
; ScratchSize: 612
; MemoryBound: 0
; FloatMode: 240
; IeeeMode: 1
; LDSByteSize: 57024 bytes/workgroup (compile time only)
; SGPRBlocks: 5
; VGPRBlocks: 31
; NumSGPRsForWavesPerEU: 46
; NumVGPRsForWavesPerEU: 256
; Occupancy: 4
; WaveLimiterHint : 1
; COMPUTE_PGM_RSRC2:SCRATCH_EN: 1
; COMPUTE_PGM_RSRC2:USER_SGPR: 6
; COMPUTE_PGM_RSRC2:TRAP_HANDLER: 0
; COMPUTE_PGM_RSRC2:TGID_X_EN: 1
; COMPUTE_PGM_RSRC2:TGID_Y_EN: 0
; COMPUTE_PGM_RSRC2:TGID_Z_EN: 0
; COMPUTE_PGM_RSRC2:TIDIG_COMP_CNT: 0
	.text
	.p2alignl 6, 3214868480
	.fill 48, 4, 3214868480
	.type	__hip_cuid_725908760342abf,@object ; @__hip_cuid_725908760342abf
	.section	.bss,"aw",@nobits
	.globl	__hip_cuid_725908760342abf
__hip_cuid_725908760342abf:
	.byte	0                               ; 0x0
	.size	__hip_cuid_725908760342abf, 1

	.ident	"AMD clang version 19.0.0git (https://github.com/RadeonOpenCompute/llvm-project roc-6.4.0 25133 c7fe45cf4b819c5991fe208aaa96edf142730f1d)"
	.section	".note.GNU-stack","",@progbits
	.addrsig
	.addrsig_sym __hip_cuid_725908760342abf
	.amdgpu_metadata
---
amdhsa.kernels:
  - .args:
      - .actual_access:  read_only
        .address_space:  global
        .offset:         0
        .size:           8
        .value_kind:     global_buffer
      - .actual_access:  read_only
        .address_space:  global
        .offset:         8
        .size:           8
        .value_kind:     global_buffer
      - .actual_access:  read_only
        .address_space:  global
        .offset:         16
        .size:           8
        .value_kind:     global_buffer
      - .actual_access:  read_only
        .address_space:  global
        .offset:         24
        .size:           8
        .value_kind:     global_buffer
      - .actual_access:  read_only
        .address_space:  global
        .offset:         32
        .size:           8
        .value_kind:     global_buffer
      - .offset:         40
        .size:           8
        .value_kind:     by_value
      - .address_space:  global
        .offset:         48
        .size:           8
        .value_kind:     global_buffer
      - .address_space:  global
        .offset:         56
        .size:           8
        .value_kind:     global_buffer
      - .address_space:  global
        .offset:         64
        .size:           8
        .value_kind:     global_buffer
      - .address_space:  global
        .offset:         72
        .size:           8
        .value_kind:     global_buffer
      - .offset:         80
        .size:           4
        .value_kind:     by_value
      - .address_space:  global
        .offset:         88
        .size:           8
        .value_kind:     global_buffer
      - .address_space:  global
        .offset:         96
        .size:           8
        .value_kind:     global_buffer
    .group_segment_fixed_size: 57024
    .kernarg_segment_align: 8
    .kernarg_segment_size: 104
    .language:       OpenCL C
    .language_version:
      - 2
      - 0
    .max_flat_workgroup_size: 198
    .name:           bluestein_single_fwd_len1188_dim1_dp_op_CI_CI
    .private_segment_fixed_size: 612
    .sgpr_count:     46
    .sgpr_spill_count: 0
    .symbol:         bluestein_single_fwd_len1188_dim1_dp_op_CI_CI.kd
    .uniform_work_group_size: 1
    .uses_dynamic_stack: false
    .vgpr_count:     256
    .vgpr_spill_count: 175
    .wavefront_size: 32
    .workgroup_processor_mode: 1
amdhsa.target:   amdgcn-amd-amdhsa--gfx1030
amdhsa.version:
  - 1
  - 2
...

	.end_amdgpu_metadata
